;; amdgpu-corpus repo=ROCm/rocFFT kind=compiled arch=gfx1100 opt=O3
	.text
	.amdgcn_target "amdgcn-amd-amdhsa--gfx1100"
	.amdhsa_code_object_version 6
	.protected	bluestein_single_back_len882_dim1_dp_op_CI_CI ; -- Begin function bluestein_single_back_len882_dim1_dp_op_CI_CI
	.globl	bluestein_single_back_len882_dim1_dp_op_CI_CI
	.p2align	8
	.type	bluestein_single_back_len882_dim1_dp_op_CI_CI,@function
bluestein_single_back_len882_dim1_dp_op_CI_CI: ; @bluestein_single_back_len882_dim1_dp_op_CI_CI
; %bb.0:
	s_load_b128 s[16:19], s[0:1], 0x28
	v_mul_u32_u24_e32 v1, 0x411, v0
	s_mov_b32 s2, exec_lo
	v_mov_b32_e32 v217, 0
	s_delay_alu instid0(VALU_DEP_2) | instskip(NEXT) | instid1(VALU_DEP_1)
	v_lshrrev_b32_e32 v1, 16, v1
	v_add_nc_u32_e32 v216, s15, v1
	s_waitcnt lgkmcnt(0)
	s_delay_alu instid0(VALU_DEP_1)
	v_cmpx_gt_u64_e64 s[16:17], v[216:217]
	s_cbranch_execz .LBB0_15
; %bb.1:
	s_clause 0x1
	s_load_b128 s[4:7], s[0:1], 0x18
	s_load_b64 s[2:3], s[0:1], 0x0
	v_mul_lo_u16 v1, v1, 63
	s_delay_alu instid0(VALU_DEP_1) | instskip(NEXT) | instid1(VALU_DEP_1)
	v_sub_nc_u16 v110, v0, v1
	v_and_b32_e32 v218, 0xffff, v110
	s_waitcnt lgkmcnt(0)
	s_load_b128 s[8:11], s[4:5], 0x0
	s_waitcnt lgkmcnt(0)
	v_mad_u64_u32 v[12:13], null, s10, v216, 0
	v_mad_u64_u32 v[14:15], null, s8, v218, 0
	s_delay_alu instid0(VALU_DEP_1)
	v_dual_mov_b32 v8, v13 :: v_dual_mov_b32 v13, v15
	v_lshlrev_b32_e32 v217, 4, v218
	s_clause 0x1
	global_load_b128 v[0:3], v217, s[2:3]
	global_load_b128 v[4:7], v217, s[2:3] offset:1568
	v_mad_u64_u32 v[15:16], null, s11, v216, v[8:9]
	v_mad_u64_u32 v[16:17], null, s9, v218, v[13:14]
	v_add_co_u32 v214, s4, s2, v217
	s_delay_alu instid0(VALU_DEP_1) | instskip(NEXT) | instid1(VALU_DEP_4)
	v_add_co_ci_u32_e64 v215, null, s3, 0, s4
	v_mov_b32_e32 v13, v15
	s_delay_alu instid0(VALU_DEP_3) | instskip(SKIP_1) | instid1(VALU_DEP_4)
	v_add_co_u32 v210, vcc_lo, 0x1000, v214
	v_mov_b32_e32 v15, v16
	v_add_co_ci_u32_e32 v211, vcc_lo, 0, v215, vcc_lo
	s_delay_alu instid0(VALU_DEP_4) | instskip(SKIP_3) | instid1(VALU_DEP_4)
	v_lshlrev_b64 v[12:13], 4, v[12:13]
	v_add_co_u32 v208, vcc_lo, 0x2000, v214
	v_add_co_ci_u32_e32 v209, vcc_lo, 0, v215, vcc_lo
	v_lshlrev_b64 v[14:15], 4, v[14:15]
	v_add_co_u32 v12, vcc_lo, s18, v12
	v_add_co_ci_u32_e32 v13, vcc_lo, s19, v13, vcc_lo
	global_load_b128 v[8:11], v217, s[2:3] offset:3136
	s_mul_i32 s3, s9, 0x62
	s_mul_hi_u32 s4, s8, 0x62
	v_add_co_u32 v28, vcc_lo, v12, v14
	s_mul_i32 s2, s8, 0x62
	s_add_i32 s3, s4, s3
	v_add_co_ci_u32_e32 v29, vcc_lo, v13, v15, vcc_lo
	s_lshl_b64 s[12:13], s[2:3], 4
	s_clause 0x1
	global_load_b128 v[20:23], v[210:211], off offset:608
	global_load_b128 v[12:15], v[210:211], off offset:2176
	v_add_co_u32 v30, vcc_lo, v28, s12
	v_add_co_ci_u32_e32 v31, vcc_lo, s13, v29, vcc_lo
	v_add_co_u32 v212, vcc_lo, 0x3000, v214
	v_add_co_ci_u32_e32 v213, vcc_lo, 0, v215, vcc_lo
	s_delay_alu instid0(VALU_DEP_4) | instskip(NEXT) | instid1(VALU_DEP_4)
	v_add_co_u32 v32, vcc_lo, v30, s12
	v_add_co_ci_u32_e32 v33, vcc_lo, s13, v31, vcc_lo
	s_clause 0x1
	global_load_b128 v[24:27], v[210:211], off offset:3744
	global_load_b128 v[16:19], v[208:209], off offset:1216
	v_add_co_u32 v34, vcc_lo, v32, s12
	v_add_co_ci_u32_e32 v35, vcc_lo, s13, v33, vcc_lo
	s_clause 0x1
	global_load_b128 v[38:41], v[28:29], off
	global_load_b128 v[42:45], v[30:31], off
	v_add_co_u32 v36, vcc_lo, v34, s12
	v_add_co_ci_u32_e32 v37, vcc_lo, s13, v35, vcc_lo
	s_clause 0x1
	global_load_b128 v[46:49], v[32:33], off
	global_load_b128 v[50:53], v[34:35], off
	v_add_co_u32 v28, vcc_lo, v36, s12
	v_add_co_ci_u32_e32 v29, vcc_lo, s13, v37, vcc_lo
	global_load_b128 v[54:57], v[36:37], off
	v_add_co_u32 v30, vcc_lo, v28, s12
	v_add_co_ci_u32_e32 v31, vcc_lo, s13, v29, vcc_lo
	;; [unrolled: 3-line block ×3, first 2 shown]
	s_delay_alu instid0(VALU_DEP_2) | instskip(NEXT) | instid1(VALU_DEP_2)
	v_add_co_u32 v36, vcc_lo, v32, s12
	v_add_co_ci_u32_e32 v37, vcc_lo, s13, v33, vcc_lo
	global_load_b128 v[62:65], v[30:31], off
	global_load_b128 v[66:69], v[32:33], off
	s_clause 0x1
	global_load_b128 v[28:31], v[208:209], off offset:2784
	global_load_b128 v[32:35], v[212:213], off offset:256
	global_load_b128 v[70:73], v[36:37], off
	s_load_b64 s[10:11], s[0:1], 0x38
	s_load_b128 s[4:7], s[6:7], 0x0
	v_cmp_gt_u16_e32 vcc_lo, 35, v110
	s_waitcnt vmcnt(10)
	v_mul_f64 v[74:75], v[40:41], v[2:3]
	v_mul_f64 v[76:77], v[38:39], v[2:3]
	s_waitcnt vmcnt(9)
	v_mul_f64 v[78:79], v[44:45], v[6:7]
	v_mul_f64 v[80:81], v[42:43], v[6:7]
	;; [unrolled: 3-line block ×9, first 2 shown]
	v_fma_f64 v[38:39], v[38:39], v[0:1], v[74:75]
	v_fma_f64 v[40:41], v[40:41], v[0:1], -v[76:77]
	v_fma_f64 v[42:43], v[42:43], v[4:5], v[78:79]
	v_fma_f64 v[44:45], v[44:45], v[4:5], -v[80:81]
	;; [unrolled: 2-line block ×4, first 2 shown]
	ds_store_b128 v217, v[38:41]
	ds_store_b128 v217, v[42:45] offset:1568
	ds_store_b128 v217, v[46:49] offset:3136
	;; [unrolled: 1-line block ×3, first 2 shown]
	v_fma_f64 v[54:55], v[54:55], v[12:13], v[90:91]
	v_fma_f64 v[56:57], v[56:57], v[12:13], -v[92:93]
	v_fma_f64 v[58:59], v[58:59], v[24:25], v[94:95]
	v_fma_f64 v[60:61], v[60:61], v[24:25], -v[96:97]
	;; [unrolled: 2-line block ×5, first 2 shown]
	ds_store_b128 v217, v[54:57] offset:6272
	ds_store_b128 v217, v[58:61] offset:7840
	;; [unrolled: 1-line block ×5, first 2 shown]
	s_and_saveexec_b32 s3, vcc_lo
	s_cbranch_execz .LBB0_3
; %bb.2:
	v_mad_u64_u32 v[52:53], null, 0xffffd2f0, s8, v[36:37]
	s_mul_i32 s2, s9, 0xffffd2f0
	s_clause 0x1
	global_load_b128 v[36:39], v[214:215], off offset:1008
	global_load_b128 v[40:43], v[214:215], off offset:2576
	s_sub_i32 s2, s2, s8
	s_clause 0x1
	global_load_b128 v[44:47], v[210:211], off offset:48
	global_load_b128 v[48:51], v[210:211], off offset:1616
	v_add_nc_u32_e32 v53, s2, v53
	v_add_co_u32 v56, s2, v52, s12
	s_delay_alu instid0(VALU_DEP_1) | instskip(NEXT) | instid1(VALU_DEP_2)
	v_add_co_ci_u32_e64 v57, s2, s13, v53, s2
	v_add_co_u32 v60, s2, v56, s12
	global_load_b128 v[52:55], v[52:53], off
	v_add_co_ci_u32_e64 v61, s2, s13, v57, s2
	v_add_co_u32 v64, s2, v60, s12
	s_delay_alu instid0(VALU_DEP_1) | instskip(NEXT) | instid1(VALU_DEP_2)
	v_add_co_ci_u32_e64 v65, s2, s13, v61, s2
	v_add_co_u32 v68, s2, v64, s12
	s_delay_alu instid0(VALU_DEP_1) | instskip(NEXT) | instid1(VALU_DEP_2)
	;; [unrolled: 3-line block ×3, first 2 shown]
	v_add_co_ci_u32_e64 v77, s2, s13, v69, s2
	v_add_co_u32 v84, s2, v76, s12
	global_load_b128 v[56:59], v[56:57], off
	global_load_b128 v[60:63], v[60:61], off
	;; [unrolled: 1-line block ×5, first 2 shown]
	v_add_co_ci_u32_e64 v85, s2, s13, v77, s2
	v_add_co_u32 v92, s2, v84, s12
	s_clause 0x1
	global_load_b128 v[76:79], v[210:211], off offset:3184
	global_load_b128 v[80:83], v[208:209], off offset:656
	v_add_co_ci_u32_e64 v93, s2, s13, v85, s2
	v_add_co_u32 v104, s2, v92, s12
	global_load_b128 v[84:87], v[84:85], off
	v_add_co_ci_u32_e64 v105, s2, s13, v93, s2
	global_load_b128 v[88:91], v[208:209], off offset:2224
	global_load_b128 v[92:95], v[92:93], off
	s_clause 0x1
	global_load_b128 v[96:99], v[208:209], off offset:3792
	global_load_b128 v[100:103], v[212:213], off offset:1264
	global_load_b128 v[104:107], v[104:105], off
	s_waitcnt vmcnt(13)
	v_mul_f64 v[108:109], v[54:55], v[38:39]
	v_mul_f64 v[38:39], v[52:53], v[38:39]
	s_waitcnt vmcnt(12)
	v_mul_f64 v[110:111], v[58:59], v[42:43]
	v_mul_f64 v[42:43], v[56:57], v[42:43]
	;; [unrolled: 3-line block ×9, first 2 shown]
	v_fma_f64 v[50:51], v[52:53], v[36:37], v[108:109]
	v_fma_f64 v[52:53], v[54:55], v[36:37], -v[38:39]
	v_fma_f64 v[36:37], v[56:57], v[40:41], v[110:111]
	v_fma_f64 v[38:39], v[58:59], v[40:41], -v[42:43]
	;; [unrolled: 2-line block ×9, first 2 shown]
	ds_store_b128 v217, v[50:53] offset:1008
	ds_store_b128 v217, v[36:39] offset:2576
	;; [unrolled: 1-line block ×9, first 2 shown]
.LBB0_3:
	s_or_b32 exec_lo, exec_lo, s3
	s_waitcnt lgkmcnt(0)
	s_barrier
	buffer_gl0_inv
	ds_load_b128 v[36:39], v217
	ds_load_b128 v[100:103], v217 offset:1568
	ds_load_b128 v[76:79], v217 offset:3136
	;; [unrolled: 1-line block ×8, first 2 shown]
	s_load_b64 s[0:1], s[0:1], 0x8
                                        ; implicit-def: $vgpr44_vgpr45
                                        ; implicit-def: $vgpr88_vgpr89
                                        ; implicit-def: $vgpr84_vgpr85
                                        ; implicit-def: $vgpr60_vgpr61
                                        ; implicit-def: $vgpr48_vgpr49
                                        ; implicit-def: $vgpr52_vgpr53
                                        ; implicit-def: $vgpr72_vgpr73
                                        ; implicit-def: $vgpr92_vgpr93
                                        ; implicit-def: $vgpr96_vgpr97
	s_and_saveexec_b32 s2, vcc_lo
	s_cbranch_execz .LBB0_5
; %bb.4:
	ds_load_b128 v[44:47], v217 offset:1008
	ds_load_b128 v[88:91], v217 offset:2576
	;; [unrolled: 1-line block ×9, first 2 shown]
.LBB0_5:
	s_or_b32 exec_lo, exec_lo, s2
	s_waitcnt lgkmcnt(0)
	v_add_f64 v[108:109], v[100:101], -v[104:105]
	v_add_f64 v[110:111], v[102:103], -v[106:107]
	v_add_f64 v[100:101], v[100:101], v[104:105]
	v_add_f64 v[102:103], v[102:103], v[106:107]
	v_add_f64 v[104:105], v[56:57], -v[40:41]
	v_add_f64 v[106:107], v[58:59], -v[42:43]
	v_add_f64 v[112:113], v[56:57], v[40:41]
	v_add_f64 v[114:115], v[58:59], v[42:43]
	;; [unrolled: 1-line block ×4, first 2 shown]
	v_add_f64 v[120:121], v[88:89], -v[96:97]
	v_add_f64 v[122:123], v[90:91], -v[98:99]
	v_add_f64 v[88:89], v[88:89], v[96:97]
	v_add_f64 v[90:91], v[90:91], v[98:99]
	v_add_f64 v[96:97], v[48:49], -v[52:53]
	v_add_f64 v[98:99], v[50:51], -v[54:55]
	v_add_f64 v[124:125], v[48:49], v[52:53]
	v_add_f64 v[126:127], v[50:51], v[54:55]
	;; [unrolled: 1-line block ×4, first 2 shown]
	s_mov_b32 s2, 0x523c161c
	s_mov_b32 s14, 0x8c811c17
	;; [unrolled: 1-line block ×8, first 2 shown]
	v_add_f64 v[76:77], v[76:77], -v[80:81]
	v_add_f64 v[78:79], v[78:79], -v[82:83]
	v_add_f64 v[150:151], v[64:65], v[68:69]
	v_add_f64 v[152:153], v[66:67], v[70:71]
	v_add_f64 v[64:65], v[64:65], -v[68:69]
	v_add_f64 v[66:67], v[66:67], -v[70:71]
	;; [unrolled: 1-line block ×4, first 2 shown]
	s_mov_b32 s16, 0x7e0b738b
	s_mov_b32 s17, 0x3fc63a1a
	v_mul_f64 v[82:83], v[108:109], s[2:3]
	v_mul_f64 v[132:133], v[110:111], s[2:3]
	v_fma_f64 v[134:135], v[100:101], s[8:9], v[36:37]
	v_fma_f64 v[136:137], v[102:103], s[8:9], v[38:39]
	v_mul_f64 v[138:139], v[104:105], s[12:13]
	v_mul_f64 v[140:141], v[106:107], s[12:13]
	v_fma_f64 v[142:143], v[112:113], s[8:9], v[36:37]
	v_fma_f64 v[144:145], v[114:115], s[8:9], v[38:39]
	;; [unrolled: 4-line block ×6, first 2 shown]
	v_add_f64 v[80:81], v[60:61], v[72:73]
	v_add_f64 v[178:179], v[116:117], v[100:101]
	;; [unrolled: 1-line block ×3, first 2 shown]
	v_add_f64 v[60:61], v[60:61], -v[72:73]
	v_add_f64 v[84:85], v[128:129], v[88:89]
	v_add_f64 v[86:87], v[130:131], v[90:91]
	s_mov_b32 s2, 0xe8584cab
	s_mov_b32 s3, 0x3febb67a
	;; [unrolled: 1-line block ×4, first 2 shown]
	v_add_f64 v[184:185], v[36:37], v[150:151]
	v_add_f64 v[186:187], v[38:39], v[152:153]
	;; [unrolled: 1-line block ×4, first 2 shown]
	v_fma_f64 v[182:183], v[76:77], s[14:15], v[82:83]
	v_fma_f64 v[132:133], v[78:79], s[14:15], v[132:133]
	;; [unrolled: 1-line block ×8, first 2 shown]
	v_fma_f64 v[146:147], v[76:77], s[12:13], -v[146:147]
	v_fma_f64 v[148:149], v[78:79], s[12:13], -v[148:149]
	v_add_f64 v[82:83], v[62:63], v[74:75]
	v_add_f64 v[62:63], v[62:63], -v[74:75]
	v_fma_f64 v[68:69], v[112:113], s[16:17], v[68:69]
	v_fma_f64 v[70:71], v[114:115], s[16:17], v[70:71]
	v_fma_f64 v[72:73], v[92:93], s[14:15], v[154:155]
	v_fma_f64 v[74:75], v[94:95], s[14:15], v[156:157]
	v_fma_f64 v[154:155], v[128:129], s[16:17], v[158:159]
	v_fma_f64 v[156:157], v[130:131], s[16:17], v[160:161]
	v_fma_f64 v[158:159], v[120:121], s[14:15], v[162:163]
	v_fma_f64 v[160:161], v[122:123], s[14:15], v[164:165]
	v_fma_f64 v[162:163], v[88:89], s[16:17], v[166:167]
	v_fma_f64 v[164:165], v[90:91], s[16:17], v[168:169]
	v_fma_f64 v[166:167], v[92:93], s[12:13], -v[170:171]
	v_fma_f64 v[168:169], v[94:95], s[12:13], -v[172:173]
	v_fma_f64 v[170:171], v[124:125], s[16:17], v[174:175]
	v_fma_f64 v[172:173], v[126:127], s[16:17], v[176:177]
	v_add_f64 v[174:175], v[104:105], v[108:109]
	v_add_f64 v[176:177], v[106:107], v[110:111]
	;; [unrolled: 1-line block ×6, first 2 shown]
	s_mov_b32 s12, 0x748a0bf8
	s_mov_b32 s14, 0x42522d1b
	;; [unrolled: 1-line block ×4, first 2 shown]
	s_barrier
	v_fma_f64 v[182:183], v[64:65], s[2:3], v[182:183]
	v_fma_f64 v[132:133], v[66:67], s[2:3], v[132:133]
	v_fma_f64 v[134:135], v[150:151], -0.5, v[134:135]
	v_fma_f64 v[136:137], v[152:153], -0.5, v[136:137]
	v_fma_f64 v[138:139], v[64:65], s[8:9], v[138:139]
	v_fma_f64 v[140:141], v[66:67], s[8:9], v[140:141]
	v_fma_f64 v[142:143], v[150:151], -0.5, v[142:143]
	v_fma_f64 v[144:145], v[152:153], -0.5, v[144:145]
	v_fma_f64 v[64:65], v[64:65], s[2:3], v[146:147]
	v_fma_f64 v[66:67], v[66:67], s[2:3], v[148:149]
	v_add_f64 v[146:147], v[44:45], v[80:81]
	v_add_f64 v[148:149], v[46:47], v[82:83]
	v_fma_f64 v[68:69], v[150:151], -0.5, v[68:69]
	v_fma_f64 v[70:71], v[152:153], -0.5, v[70:71]
	v_add_f64 v[150:151], v[124:125], v[84:85]
	v_add_f64 v[152:153], v[126:127], v[86:87]
	v_fma_f64 v[72:73], v[60:61], s[2:3], v[72:73]
	v_fma_f64 v[74:75], v[62:63], s[2:3], v[74:75]
	v_fma_f64 v[154:155], v[80:81], -0.5, v[154:155]
	v_fma_f64 v[156:157], v[82:83], -0.5, v[156:157]
	v_fma_f64 v[158:159], v[60:61], s[8:9], v[158:159]
	v_fma_f64 v[160:161], v[62:63], s[8:9], v[160:161]
	v_fma_f64 v[162:163], v[80:81], -0.5, v[162:163]
	v_fma_f64 v[164:165], v[82:83], -0.5, v[164:165]
	;; [unrolled: 4-line block ×3, first 2 shown]
	v_add_f64 v[170:171], v[174:175], -v[76:77]
	v_add_f64 v[172:173], v[176:177], -v[78:79]
	v_add_f64 v[56:57], v[56:57], v[178:179]
	v_add_f64 v[58:59], v[58:59], v[180:181]
	v_fma_f64 v[174:175], v[192:193], -0.5, v[184:185]
	v_fma_f64 v[176:177], v[194:195], -0.5, v[186:187]
	buffer_gl0_inv
	v_fma_f64 v[182:183], v[104:105], s[12:13], v[182:183]
	v_fma_f64 v[132:133], v[106:107], s[12:13], v[132:133]
	v_fma_f64 v[104:105], v[112:113], s[14:15], v[134:135]
	v_fma_f64 v[106:107], v[114:115], s[14:15], v[136:137]
	v_fma_f64 v[134:135], v[76:77], s[12:13], v[138:139]
	v_fma_f64 v[136:137], v[78:79], s[12:13], v[140:141]
	v_fma_f64 v[76:77], v[116:117], s[14:15], v[142:143]
	v_fma_f64 v[78:79], v[118:119], s[14:15], v[144:145]
	v_fma_f64 v[138:139], v[108:109], s[12:13], v[64:65]
	v_fma_f64 v[140:141], v[110:111], s[12:13], v[66:67]
	v_add_f64 v[64:65], v[188:189], -v[92:93]
	v_add_f64 v[66:67], v[190:191], -v[94:95]
	v_fma_f64 v[108:109], v[100:101], s[14:15], v[68:69]
	v_fma_f64 v[110:111], v[102:103], s[14:15], v[70:71]
	v_fma_f64 v[68:69], v[150:151], -0.5, v[146:147]
	v_fma_f64 v[70:71], v[152:153], -0.5, v[148:149]
	v_fma_f64 v[142:143], v[96:97], s[12:13], v[72:73]
	v_fma_f64 v[144:145], v[98:99], s[12:13], v[74:75]
	;; [unrolled: 1-line block ×12, first 2 shown]
	v_mul_f64 v[116:117], v[170:171], s[2:3]
	v_mul_f64 v[118:119], v[172:173], s[2:3]
	v_add_f64 v[40:41], v[40:41], v[56:57]
	v_add_f64 v[42:43], v[42:43], v[58:59]
	v_fma_f64 v[89:90], v[172:173], s[2:3], v[174:175]
	v_fma_f64 v[91:92], v[170:171], s[8:9], v[176:177]
	v_mul_lo_u16 v88, v218, 9
	v_add_f64 v[93:94], v[132:133], v[104:105]
	v_add_f64 v[95:96], v[106:107], -v[182:183]
	v_add_f64 v[97:98], v[76:77], v[136:137]
	v_add_f64 v[99:100], v[78:79], -v[134:135]
	v_mul_f64 v[120:121], v[64:65], s[2:3]
	v_mul_f64 v[122:123], v[66:67], s[2:3]
	v_add_f64 v[101:102], v[140:141], v[108:109]
	v_add_f64 v[103:104], v[110:111], -v[138:139]
	v_fma_f64 v[68:69], v[66:67], s[2:3], v[68:69]
	v_fma_f64 v[70:71], v[64:65], s[8:9], v[70:71]
	v_add_f64 v[64:65], v[144:145], v[72:73]
	v_add_f64 v[66:67], v[74:75], -v[142:143]
	v_add_f64 v[76:77], v[112:113], v[146:147]
	v_add_f64 v[78:79], v[114:115], -v[125:126]
	;; [unrolled: 2-line block ×3, first 2 shown]
	v_add_f64 v[109:110], v[36:37], v[40:41]
	v_add_f64 v[111:112], v[38:39], v[42:43]
	v_fma_f64 v[105:106], v[118:119], -2.0, v[89:90]
	v_fma_f64 v[107:108], v[116:117], 2.0, v[91:92]
	v_fma_f64 v[113:114], v[132:133], -2.0, v[93:94]
	v_fma_f64 v[115:116], v[182:183], 2.0, v[95:96]
	v_fma_f64 v[117:118], v[136:137], -2.0, v[97:98]
	v_fma_f64 v[40:41], v[122:123], -2.0, v[68:69]
	v_fma_f64 v[42:43], v[120:121], 2.0, v[70:71]
	v_fma_f64 v[121:122], v[140:141], -2.0, v[101:102]
	v_fma_f64 v[123:124], v[138:139], 2.0, v[103:104]
	v_fma_f64 v[60:61], v[144:145], -2.0, v[64:65]
	v_fma_f64 v[62:63], v[142:143], 2.0, v[66:67]
	v_fma_f64 v[119:120], v[134:135], 2.0, v[99:100]
	v_fma_f64 v[56:57], v[146:147], -2.0, v[76:77]
	v_fma_f64 v[58:59], v[125:126], 2.0, v[78:79]
	v_and_b32_e32 v125, 0xffff, v88
	v_add_co_u32 v88, s2, v218, 63
	v_fma_f64 v[36:37], v[129:130], -2.0, v[72:73]
	v_fma_f64 v[38:39], v[127:128], 2.0, v[74:75]
	s_delay_alu instid0(VALU_DEP_4) | instskip(NEXT) | instid1(VALU_DEP_4)
	v_lshlrev_b32_e32 v220, 4, v125
	v_mul_u32_u24_e32 v219, 9, v88
	v_add_co_ci_u32_e64 v126, null, 0, 0, s2
	ds_store_b128 v220, v[109:112]
	ds_store_b128 v220, v[93:96] offset:16
	ds_store_b128 v220, v[97:100] offset:32
	ds_store_b128 v220, v[89:92] offset:48
	ds_store_b128 v220, v[101:104] offset:64
	ds_store_b128 v220, v[121:124] offset:80
	ds_store_b128 v220, v[105:108] offset:96
	ds_store_b128 v220, v[117:120] offset:112
	ds_store_b128 v220, v[113:116] offset:128
	s_and_saveexec_b32 s2, vcc_lo
	s_cbranch_execz .LBB0_7
; %bb.6:
	v_add_f64 v[82:83], v[82:83], v[86:87]
	v_add_f64 v[80:81], v[80:81], v[84:85]
	s_delay_alu instid0(VALU_DEP_2) | instskip(NEXT) | instid1(VALU_DEP_2)
	v_add_f64 v[50:51], v[50:51], v[82:83]
	v_add_f64 v[48:49], v[48:49], v[80:81]
	s_delay_alu instid0(VALU_DEP_2) | instskip(NEXT) | instid1(VALU_DEP_2)
	;; [unrolled: 3-line block ×3, first 2 shown]
	v_add_f64 v[46:47], v[46:47], v[50:51]
	v_add_f64 v[44:45], v[44:45], v[48:49]
	v_lshlrev_b32_e32 v48, 4, v219
	ds_store_b128 v48, v[76:79] offset:32
	ds_store_b128 v48, v[68:71] offset:48
	;; [unrolled: 1-line block ×6, first 2 shown]
	ds_store_b128 v48, v[44:47]
	ds_store_b128 v48, v[64:67] offset:16
	ds_store_b128 v48, v[60:63] offset:128
.LBB0_7:
	s_or_b32 exec_lo, exec_lo, s2
	v_and_b32_e32 v44, 0xff, v218
	s_waitcnt lgkmcnt(0)
	s_barrier
	buffer_gl0_inv
	s_mov_b32 s18, 0xe976ee23
	v_mul_lo_u16 v44, v44, 57
	s_mov_b32 s19, 0xbfe11646
	s_mov_b32 s8, 0x429ad128
	;; [unrolled: 1-line block ×4, first 2 shown]
	v_lshrrev_b16 v103, 9, v44
	s_mov_b32 s23, 0x3fe948f6
	s_mov_b32 s14, 0xaaaaaaaa
	;; [unrolled: 1-line block ×4, first 2 shown]
	v_mul_lo_u16 v44, v103, 9
	s_mov_b32 s20, 0xb247c609
	s_mov_b32 s15, 0xbff2aaaa
	;; [unrolled: 1-line block ×4, first 2 shown]
	v_sub_nc_u16 v44, v218, v44
	s_mov_b32 s25, 0xbfe77f67
	s_mov_b32 s21, 0x3fd5d0dc
	;; [unrolled: 1-line block ×4, first 2 shown]
	v_and_b32_e32 v100, 0xff, v44
	s_mov_b32 s24, s16
	s_mov_b32 s2, 0x36b3c0b5
	s_mov_b32 s3, 0x3fac98ee
	v_and_b32_e32 v103, 0xffff, v103
	v_mul_u32_u24_e32 v44, 6, v100
	s_delay_alu instid0(VALU_DEP_2) | instskip(NEXT) | instid1(VALU_DEP_2)
	v_mul_u32_u24_e32 v103, 63, v103
	v_lshlrev_b32_e32 v94, 4, v44
	s_clause 0x2
	global_load_b128 v[52:55], v94, s[0:1]
	global_load_b128 v[48:51], v94, s[0:1] offset:16
	global_load_b128 v[44:47], v94, s[0:1] offset:80
	ds_load_b128 v[64:67], v217 offset:2016
	ds_load_b128 v[68:71], v217 offset:4032
	v_add_lshl_u32 v222, v103, v100, 4
	s_waitcnt vmcnt(2) lgkmcnt(1)
	v_mul_f64 v[72:73], v[66:67], v[54:55]
	v_mul_f64 v[74:75], v[64:65], v[54:55]
	s_waitcnt vmcnt(1) lgkmcnt(0)
	v_mul_f64 v[76:77], v[70:71], v[50:51]
	s_delay_alu instid0(VALU_DEP_3) | instskip(SKIP_1) | instid1(VALU_DEP_4)
	v_fma_f64 v[112:113], v[64:65], v[52:53], -v[72:73]
	v_mul_f64 v[64:65], v[68:69], v[50:51]
	v_fma_f64 v[114:115], v[66:67], v[52:53], v[74:75]
	s_delay_alu instid0(VALU_DEP_4) | instskip(NEXT) | instid1(VALU_DEP_3)
	v_fma_f64 v[116:117], v[68:69], v[48:49], -v[76:77]
	v_fma_f64 v[118:119], v[70:71], v[48:49], v[64:65]
	ds_load_b128 v[64:67], v217 offset:12096
	s_waitcnt vmcnt(0) lgkmcnt(0)
	v_mul_f64 v[68:69], v[66:67], v[46:47]
	s_delay_alu instid0(VALU_DEP_1)
	v_fma_f64 v[120:121], v[64:65], v[44:45], -v[68:69]
	v_mul_f64 v[64:65], v[64:65], v[46:47]
	ds_load_b128 v[68:71], v217 offset:10080
	v_add_f64 v[160:161], v[112:113], v[120:121]
	v_fma_f64 v[122:123], v[66:67], v[44:45], v[64:65]
	global_load_b128 v[64:67], v94, s[0:1] offset:64
	v_add_f64 v[120:121], v[112:113], -v[120:121]
	v_add_f64 v[168:169], v[114:115], v[122:123]
	v_add_f64 v[122:123], v[114:115], -v[122:123]
	s_waitcnt vmcnt(0) lgkmcnt(0)
	v_mul_f64 v[72:73], v[70:71], v[66:67]
	s_delay_alu instid0(VALU_DEP_1)
	v_fma_f64 v[124:125], v[68:69], v[64:65], -v[72:73]
	v_mul_f64 v[68:69], v[68:69], v[66:67]
	ds_load_b128 v[72:75], v217 offset:3024
	v_add_f64 v[162:163], v[116:117], v[124:125]
	v_fma_f64 v[126:127], v[70:71], v[64:65], v[68:69]
	v_and_b32_e32 v68, 0xff, v88
	v_add_f64 v[116:117], v[116:117], -v[124:125]
	s_delay_alu instid0(VALU_DEP_2) | instskip(NEXT) | instid1(VALU_DEP_1)
	v_mul_lo_u16 v68, v68, 57
	v_lshrrev_b16 v101, 9, v68
	s_delay_alu instid0(VALU_DEP_1) | instskip(SKIP_1) | instid1(VALU_DEP_2)
	v_mul_lo_u16 v68, v101, 9
	v_and_b32_e32 v100, 0xffff, v101
	v_sub_nc_u16 v68, v88, v68
	s_delay_alu instid0(VALU_DEP_2) | instskip(NEXT) | instid1(VALU_DEP_2)
	v_mul_u32_u24_e32 v100, 63, v100
	v_and_b32_e32 v102, 0xff, v68
	s_delay_alu instid0(VALU_DEP_1) | instskip(NEXT) | instid1(VALU_DEP_3)
	v_mul_u32_u24_e32 v68, 6, v102
	v_add_lshl_u32 v221, v100, v102, 4
	s_delay_alu instid0(VALU_DEP_2)
	v_lshlrev_b32_e32 v106, 4, v68
	v_add_f64 v[170:171], v[118:119], v[126:127]
	v_add_f64 v[112:113], v[118:119], -v[126:127]
	global_load_b128 v[68:71], v106, s[0:1]
	s_waitcnt vmcnt(0) lgkmcnt(0)
	v_mul_f64 v[76:77], v[74:75], v[70:71]
	s_delay_alu instid0(VALU_DEP_1)
	v_fma_f64 v[136:137], v[72:73], v[68:69], -v[76:77]
	v_mul_f64 v[72:73], v[72:73], v[70:71]
	ds_load_b128 v[76:79], v217 offset:5040
	v_fma_f64 v[138:139], v[74:75], v[68:69], v[72:73]
	global_load_b128 v[72:75], v106, s[0:1] offset:16
	s_waitcnt vmcnt(0) lgkmcnt(0)
	v_mul_f64 v[80:81], v[78:79], v[74:75]
	s_delay_alu instid0(VALU_DEP_1)
	v_fma_f64 v[140:141], v[76:77], v[72:73], -v[80:81]
	v_mul_f64 v[76:77], v[76:77], v[74:75]
	ds_load_b128 v[80:83], v217 offset:13104
	v_fma_f64 v[142:143], v[78:79], v[72:73], v[76:77]
	global_load_b128 v[76:79], v106, s[0:1] offset:80
	s_waitcnt vmcnt(0) lgkmcnt(0)
	v_mul_f64 v[84:85], v[82:83], v[78:79]
	s_delay_alu instid0(VALU_DEP_1)
	v_fma_f64 v[144:145], v[80:81], v[76:77], -v[84:85]
	v_mul_f64 v[80:81], v[80:81], v[78:79]
	ds_load_b128 v[84:87], v217 offset:11088
	v_add_f64 v[176:177], v[136:137], v[144:145]
	v_fma_f64 v[146:147], v[82:83], v[76:77], v[80:81]
	global_load_b128 v[80:83], v106, s[0:1] offset:64
	v_add_f64 v[144:145], v[136:137], -v[144:145]
	v_add_f64 v[184:185], v[138:139], v[146:147]
	v_add_f64 v[146:147], v[138:139], -v[146:147]
	s_waitcnt vmcnt(0) lgkmcnt(0)
	v_mul_f64 v[88:89], v[86:87], v[82:83]
	s_delay_alu instid0(VALU_DEP_1)
	v_fma_f64 v[148:149], v[84:85], v[80:81], -v[88:89]
	v_mul_f64 v[84:85], v[84:85], v[82:83]
	ds_load_b128 v[88:91], v217 offset:6048
	v_add_f64 v[178:179], v[140:141], v[148:149]
	v_fma_f64 v[150:151], v[86:87], v[80:81], v[84:85]
	global_load_b128 v[84:87], v94, s[0:1] offset:32
	v_add_f64 v[140:141], v[140:141], -v[148:149]
	v_add_f64 v[186:187], v[142:143], v[150:151]
	v_add_f64 v[136:137], v[142:143], -v[150:151]
	s_waitcnt vmcnt(0) lgkmcnt(0)
	v_mul_f64 v[92:93], v[90:91], v[86:87]
	s_delay_alu instid0(VALU_DEP_1) | instskip(SKIP_2) | instid1(VALU_DEP_1)
	v_fma_f64 v[128:129], v[88:89], v[84:85], -v[92:93]
	global_load_b128 v[92:95], v94, s[0:1] offset:48
	v_mul_f64 v[88:89], v[88:89], v[86:87]
	v_fma_f64 v[130:131], v[90:91], v[84:85], v[88:89]
	ds_load_b128 v[88:91], v217 offset:8064
	s_waitcnt vmcnt(0) lgkmcnt(0)
	v_mul_f64 v[96:97], v[90:91], v[94:95]
	s_delay_alu instid0(VALU_DEP_1)
	v_fma_f64 v[132:133], v[88:89], v[92:93], -v[96:97]
	v_mul_f64 v[88:89], v[88:89], v[94:95]
	ds_load_b128 v[96:99], v217 offset:7056
	v_add_f64 v[124:125], v[132:133], -v[128:129]
	v_fma_f64 v[134:135], v[90:91], v[92:93], v[88:89]
	global_load_b128 v[88:91], v106, s[0:1] offset:32
	v_add_f64 v[164:165], v[128:129], v[132:133]
	v_add_f64 v[128:129], v[116:117], -v[120:121]
	v_add_f64 v[114:115], v[124:125], -v[116:117]
	;; [unrolled: 1-line block ×3, first 2 shown]
	v_add_f64 v[172:173], v[130:131], v[134:135]
	v_add_f64 v[116:117], v[124:125], v[116:117]
	v_add_f64 v[130:131], v[112:113], -v[122:123]
	v_add_f64 v[134:135], v[162:163], -v[160:161]
	;; [unrolled: 1-line block ×3, first 2 shown]
	v_mul_f64 v[192:193], v[114:115], s[18:19]
	v_add_f64 v[118:119], v[126:127], -v[112:113]
	v_add_f64 v[112:113], v[126:127], v[112:113]
	v_add_f64 v[196:197], v[116:117], v[120:121]
	s_delay_alu instid0(VALU_DEP_4) | instskip(NEXT) | instid1(VALU_DEP_4)
	v_fma_f64 v[116:117], v[128:129], s[8:9], -v[192:193]
	v_mul_f64 v[194:195], v[118:119], s[18:19]
	s_delay_alu instid0(VALU_DEP_4) | instskip(SKIP_1) | instid1(VALU_DEP_4)
	v_add_f64 v[198:199], v[112:113], v[122:123]
	v_mul_f64 v[112:113], v[132:133], s[2:3]
	v_fma_f64 v[118:119], v[196:197], s[12:13], v[116:117]
	s_delay_alu instid0(VALU_DEP_4) | instskip(NEXT) | instid1(VALU_DEP_3)
	v_fma_f64 v[116:117], v[130:131], s[8:9], -v[194:195]
	v_fma_f64 v[112:113], v[134:135], s[16:17], -v[112:113]
	s_delay_alu instid0(VALU_DEP_2) | instskip(SKIP_2) | instid1(VALU_DEP_1)
	v_fma_f64 v[116:117], v[198:199], s[12:13], v[116:117]
	s_waitcnt vmcnt(0) lgkmcnt(0)
	v_mul_f64 v[104:105], v[98:99], v[90:91]
	v_fma_f64 v[152:153], v[96:97], v[88:89], -v[104:105]
	v_mul_f64 v[96:97], v[96:97], v[90:91]
	s_delay_alu instid0(VALU_DEP_1) | instskip(SKIP_4) | instid1(VALU_DEP_1)
	v_fma_f64 v[154:155], v[98:99], v[88:89], v[96:97]
	global_load_b128 v[96:99], v106, s[0:1] offset:48
	ds_load_b128 v[104:107], v217 offset:9072
	s_waitcnt vmcnt(0) lgkmcnt(0)
	v_mul_f64 v[108:109], v[106:107], v[98:99]
	v_fma_f64 v[156:157], v[104:105], v[96:97], -v[108:109]
	v_mul_f64 v[104:105], v[104:105], v[98:99]
	v_add_f64 v[108:109], v[178:179], v[176:177]
	s_delay_alu instid0(VALU_DEP_3) | instskip(NEXT) | instid1(VALU_DEP_3)
	v_add_f64 v[180:181], v[152:153], v[156:157]
	v_fma_f64 v[158:159], v[106:107], v[96:97], v[104:105]
	v_add_f64 v[104:105], v[162:163], v[160:161]
	v_add_f64 v[160:161], v[160:161], -v[164:165]
	v_add_f64 v[162:163], v[172:173], -v[170:171]
	;; [unrolled: 1-line block ×4, first 2 shown]
	v_add_f64 v[182:183], v[180:181], v[108:109]
	v_add_f64 v[188:189], v[154:155], v[158:159]
	;; [unrolled: 1-line block ×5, first 2 shown]
	v_add_f64 v[170:171], v[170:171], -v[168:169]
	v_add_f64 v[164:165], v[168:169], -v[172:173]
	;; [unrolled: 1-line block ×3, first 2 shown]
	v_mul_f64 v[120:121], v[128:129], s[8:9]
	v_mul_f64 v[128:129], v[160:161], s[22:23]
	v_add_f64 v[150:151], v[158:159], -v[154:155]
	v_add_f64 v[138:139], v[148:149], -v[140:141]
	v_mul_f64 v[114:115], v[162:163], s[2:3]
	v_add_f64 v[140:141], v[148:149], v[140:141]
	v_add_f64 v[154:155], v[136:137], -v[146:147]
	v_add_f64 v[156:157], v[180:181], -v[178:179]
	;; [unrolled: 1-line block ×5, first 2 shown]
	v_add_f64 v[174:175], v[172:173], v[104:105]
	ds_load_b128 v[104:107], v217
	v_add_f64 v[190:191], v[188:189], v[108:109]
	ds_load_b128 v[108:111], v217 offset:1008
	v_add_f64 v[172:173], v[122:123], -v[126:127]
	v_mul_f64 v[122:123], v[130:131], s[8:9]
	v_mul_f64 v[130:131], v[164:165], s[22:23]
	v_fma_f64 v[124:125], v[134:135], s[24:25], -v[128:129]
	v_fma_f64 v[120:121], v[168:169], s[26:27], -v[120:121]
	v_fma_f64 v[128:129], v[132:133], s[2:3], v[128:129]
	v_add_f64 v[142:143], v[150:151], -v[136:137]
	v_add_f64 v[136:137], v[150:151], v[136:137]
	v_mul_f64 v[164:165], v[138:139], s[18:19]
	v_fma_f64 v[114:115], v[170:171], s[16:17], -v[114:115]
	s_waitcnt lgkmcnt(0)
	s_barrier
	buffer_gl0_inv
	v_add_f64 v[104:105], v[104:105], v[166:167]
	v_add_f64 v[108:109], v[108:109], v[182:183]
	v_add_f64 v[106:107], v[106:107], v[174:175]
	v_add_f64 v[110:111], v[110:111], v[190:191]
	v_fma_f64 v[122:123], v[172:173], s[26:27], -v[122:123]
	v_fma_f64 v[126:127], v[170:171], s[24:25], -v[130:131]
	v_fma_f64 v[130:131], v[162:163], s[2:3], v[130:131]
	v_fma_f64 v[134:135], v[196:197], s[12:13], v[120:121]
	v_add_f64 v[170:171], v[136:137], v[146:147]
	v_mul_f64 v[136:137], v[156:157], s[2:3]
	v_fma_f64 v[166:167], v[166:167], s[14:15], v[104:105]
	v_fma_f64 v[174:175], v[174:175], s[14:15], v[106:107]
	;; [unrolled: 1-line block ×3, first 2 shown]
	s_delay_alu instid0(VALU_DEP_4) | instskip(NEXT) | instid1(VALU_DEP_4)
	v_fma_f64 v[136:137], v[158:159], s[16:17], -v[136:137]
	v_add_f64 v[124:125], v[124:125], v[166:167]
	v_add_f64 v[200:201], v[112:113], v[166:167]
	;; [unrolled: 1-line block ×5, first 2 shown]
	v_fma_f64 v[174:175], v[190:191], s[14:15], v[110:111]
	v_add_f64 v[120:121], v[160:161], v[124:125]
	v_add_f64 v[124:125], v[124:125], -v[160:161]
	v_fma_f64 v[160:161], v[172:173], s[20:21], v[194:195]
	v_fma_f64 v[172:173], v[182:183], s[14:15], v[108:109]
	v_add_f64 v[112:113], v[200:201], -v[116:117]
	v_add_f64 v[116:117], v[116:117], v[200:201]
	v_add_f64 v[122:123], v[126:127], -v[134:135]
	v_add_f64 v[126:127], v[134:135], v[126:127]
	v_fma_f64 v[134:135], v[168:169], s[20:21], v[192:193]
	v_add_f64 v[168:169], v[140:141], v[144:145]
	v_fma_f64 v[140:141], v[152:153], s[8:9], -v[164:165]
	v_mul_f64 v[144:145], v[152:153], s[8:9]
	v_mul_f64 v[152:153], v[176:177], s[22:23]
	v_add_f64 v[114:115], v[118:119], v[202:203]
	v_add_f64 v[118:119], v[202:203], -v[118:119]
	v_fma_f64 v[132:133], v[198:199], s[12:13], v[160:161]
	v_add_f64 v[160:161], v[128:129], v[166:167]
	v_mul_f64 v[166:167], v[142:143], s[18:19]
	v_add_f64 v[178:179], v[136:137], v[172:173]
	v_fma_f64 v[134:135], v[196:197], s[12:13], v[134:135]
	v_fma_f64 v[142:143], v[168:169], s[12:13], v[140:141]
	v_fma_f64 v[144:145], v[180:181], s[26:27], -v[144:145]
	v_fma_f64 v[148:149], v[158:159], s[24:25], -v[152:153]
	v_fma_f64 v[152:153], v[156:157], s[2:3], v[152:153]
	v_add_f64 v[128:129], v[132:133], v[160:161]
	v_add_f64 v[132:133], v[160:161], -v[132:133]
	v_add_f64 v[160:161], v[188:189], -v[186:187]
	v_fma_f64 v[140:141], v[154:155], s[8:9], -v[166:167]
	v_add_f64 v[130:131], v[162:163], -v[134:135]
	v_add_f64 v[134:135], v[134:135], v[162:163]
	v_add_f64 v[162:163], v[186:187], -v[184:185]
	v_fma_f64 v[158:159], v[168:169], s[12:13], v[144:145]
	v_add_f64 v[148:149], v[148:149], v[172:173]
	ds_store_b128 v222, v[104:107]
	ds_store_b128 v222, v[128:131] offset:144
	ds_store_b128 v222, v[120:123] offset:288
	;; [unrolled: 1-line block ×6, first 2 shown]
	v_mul_f64 v[138:139], v[160:161], s[2:3]
	v_fma_f64 v[140:141], v[170:171], s[12:13], v[140:141]
	v_mad_u64_u32 v[124:125], null, 0x60, v218, s[0:1]
	s_delay_alu instid0(VALU_DEP_3) | instskip(NEXT) | instid1(VALU_DEP_3)
	v_fma_f64 v[138:139], v[162:163], s[16:17], -v[138:139]
	v_add_f64 v[136:137], v[178:179], -v[140:141]
	v_add_f64 v[140:141], v[140:141], v[178:179]
	v_add_f64 v[178:179], v[184:185], -v[188:189]
	s_delay_alu instid0(VALU_DEP_4) | instskip(NEXT) | instid1(VALU_DEP_1)
	v_add_f64 v[182:183], v[138:139], v[174:175]
	v_add_f64 v[138:139], v[142:143], v[182:183]
	v_add_f64 v[142:143], v[182:183], -v[142:143]
	v_add_f64 v[182:183], v[146:147], -v[150:151]
	v_mul_f64 v[146:147], v[154:155], s[8:9]
	v_mul_f64 v[154:155], v[178:179], s[22:23]
	s_delay_alu instid0(VALU_DEP_2) | instskip(NEXT) | instid1(VALU_DEP_2)
	v_fma_f64 v[146:147], v[182:183], s[26:27], -v[146:147]
	v_fma_f64 v[150:151], v[162:163], s[24:25], -v[154:155]
	v_fma_f64 v[154:155], v[160:161], s[2:3], v[154:155]
	v_add_f64 v[160:161], v[152:153], v[172:173]
	s_delay_alu instid0(VALU_DEP_4) | instskip(NEXT) | instid1(VALU_DEP_4)
	v_fma_f64 v[162:163], v[170:171], s[12:13], v[146:147]
	v_add_f64 v[150:151], v[150:151], v[174:175]
	s_delay_alu instid0(VALU_DEP_2) | instskip(NEXT) | instid1(VALU_DEP_2)
	v_add_f64 v[144:145], v[162:163], v[148:149]
	v_add_f64 v[146:147], v[150:151], -v[158:159]
	v_add_f64 v[148:149], v[148:149], -v[162:163]
	v_add_f64 v[150:151], v[158:159], v[150:151]
	v_fma_f64 v[158:159], v[180:181], s[20:21], v[164:165]
	v_fma_f64 v[162:163], v[182:183], s[20:21], v[166:167]
	s_delay_alu instid0(VALU_DEP_2) | instskip(NEXT) | instid1(VALU_DEP_2)
	v_fma_f64 v[158:159], v[168:169], s[12:13], v[158:159]
	v_fma_f64 v[156:157], v[170:171], s[12:13], v[162:163]
	v_add_f64 v[162:163], v[154:155], v[174:175]
	s_delay_alu instid0(VALU_DEP_2) | instskip(NEXT) | instid1(VALU_DEP_2)
	v_add_f64 v[152:153], v[156:157], v[160:161]
	v_add_f64 v[154:155], v[162:163], -v[158:159]
	v_add_f64 v[156:157], v[160:161], -v[156:157]
	v_add_f64 v[158:159], v[158:159], v[162:163]
	ds_store_b128 v221, v[108:111]
	ds_store_b128 v221, v[152:155] offset:144
	ds_store_b128 v221, v[144:147] offset:288
	;; [unrolled: 1-line block ×6, first 2 shown]
	s_waitcnt lgkmcnt(0)
	s_barrier
	buffer_gl0_inv
	global_load_b128 v[100:103], v[124:125], off offset:864
	ds_load_b128 v[104:107], v217 offset:2016
	s_waitcnt vmcnt(0) lgkmcnt(0)
	v_mul_f64 v[108:109], v[106:107], v[102:103]
	s_delay_alu instid0(VALU_DEP_1)
	v_fma_f64 v[134:135], v[104:105], v[100:101], -v[108:109]
	v_mul_f64 v[104:105], v[104:105], v[102:103]
	ds_load_b128 v[108:111], v217 offset:4032
	v_fma_f64 v[136:137], v[106:107], v[100:101], v[104:105]
	global_load_b128 v[104:107], v[124:125], off offset:880
	s_waitcnt vmcnt(0) lgkmcnt(0)
	v_mul_f64 v[112:113], v[110:111], v[106:107]
	s_delay_alu instid0(VALU_DEP_1)
	v_fma_f64 v[138:139], v[108:109], v[104:105], -v[112:113]
	v_mul_f64 v[108:109], v[108:109], v[106:107]
	ds_load_b128 v[112:115], v217 offset:12096
	v_fma_f64 v[140:141], v[110:111], v[104:105], v[108:109]
	global_load_b128 v[108:111], v[124:125], off offset:944
	s_waitcnt vmcnt(0) lgkmcnt(0)
	v_mul_f64 v[116:117], v[114:115], v[110:111]
	s_delay_alu instid0(VALU_DEP_1)
	v_fma_f64 v[142:143], v[112:113], v[108:109], -v[116:117]
	v_mul_f64 v[112:113], v[112:113], v[110:111]
	ds_load_b128 v[116:119], v217 offset:10080
	v_add_f64 v[182:183], v[134:135], v[142:143]
	v_fma_f64 v[144:145], v[114:115], v[108:109], v[112:113]
	global_load_b128 v[112:115], v[124:125], off offset:928
	v_add_f64 v[142:143], v[134:135], -v[142:143]
	v_add_f64 v[190:191], v[136:137], v[144:145]
	v_add_f64 v[144:145], v[136:137], -v[144:145]
	s_waitcnt vmcnt(0) lgkmcnt(0)
	v_mul_f64 v[120:121], v[118:119], v[114:115]
	s_delay_alu instid0(VALU_DEP_1) | instskip(SKIP_1) | instid1(VALU_DEP_2)
	v_fma_f64 v[146:147], v[116:117], v[112:113], -v[120:121]
	v_mul_f64 v[116:117], v[116:117], v[114:115]
	v_add_f64 v[184:185], v[138:139], v[146:147]
	s_delay_alu instid0(VALU_DEP_2)
	v_fma_f64 v[148:149], v[118:119], v[112:113], v[116:117]
	ds_load_b128 v[116:119], v217 offset:3024
	v_add_f64 v[138:139], v[138:139], -v[146:147]
	s_waitcnt lgkmcnt(0)
	v_mul_f64 v[120:121], v[118:119], v[102:103]
	v_add_f64 v[192:193], v[140:141], v[148:149]
	v_add_f64 v[134:135], v[140:141], -v[148:149]
	s_delay_alu instid0(VALU_DEP_3) | instskip(SKIP_1) | instid1(VALU_DEP_1)
	v_fma_f64 v[158:159], v[116:117], v[100:101], -v[120:121]
	v_mul_f64 v[116:117], v[116:117], v[102:103]
	v_fma_f64 v[160:161], v[118:119], v[100:101], v[116:117]
	ds_load_b128 v[116:119], v217 offset:5040
	s_waitcnt lgkmcnt(0)
	v_mul_f64 v[120:121], v[118:119], v[106:107]
	s_delay_alu instid0(VALU_DEP_1) | instskip(SKIP_1) | instid1(VALU_DEP_1)
	v_fma_f64 v[162:163], v[116:117], v[104:105], -v[120:121]
	v_mul_f64 v[116:117], v[116:117], v[106:107]
	v_fma_f64 v[164:165], v[118:119], v[104:105], v[116:117]
	ds_load_b128 v[116:119], v217 offset:13104
	s_waitcnt lgkmcnt(0)
	v_mul_f64 v[120:121], v[118:119], v[110:111]
	s_delay_alu instid0(VALU_DEP_1) | instskip(SKIP_1) | instid1(VALU_DEP_2)
	v_fma_f64 v[166:167], v[116:117], v[108:109], -v[120:121]
	v_mul_f64 v[116:117], v[116:117], v[110:111]
	v_add_f64 v[198:199], v[158:159], v[166:167]
	s_delay_alu instid0(VALU_DEP_2)
	v_fma_f64 v[168:169], v[118:119], v[108:109], v[116:117]
	ds_load_b128 v[116:119], v217 offset:11088
	v_add_f64 v[166:167], v[158:159], -v[166:167]
	s_waitcnt lgkmcnt(0)
	v_mul_f64 v[120:121], v[118:119], v[114:115]
	v_add_f64 v[206:207], v[160:161], v[168:169]
	v_add_f64 v[168:169], v[160:161], -v[168:169]
	s_delay_alu instid0(VALU_DEP_3)
	v_fma_f64 v[170:171], v[116:117], v[112:113], -v[120:121]
	v_mul_f64 v[116:117], v[116:117], v[114:115]
	ds_load_b128 v[120:123], v217 offset:6048
	v_add_f64 v[200:201], v[162:163], v[170:171]
	v_fma_f64 v[172:173], v[118:119], v[112:113], v[116:117]
	global_load_b128 v[116:119], v[124:125], off offset:896
	v_add_f64 v[162:163], v[162:163], -v[170:171]
	v_add_f64 v[223:224], v[164:165], v[172:173]
	v_add_f64 v[158:159], v[164:165], -v[172:173]
	s_waitcnt vmcnt(0) lgkmcnt(0)
	v_mul_f64 v[126:127], v[122:123], v[118:119]
	s_delay_alu instid0(VALU_DEP_1)
	v_fma_f64 v[150:151], v[120:121], v[116:117], -v[126:127]
	v_mul_f64 v[120:121], v[120:121], v[118:119]
	ds_load_b128 v[126:129], v217 offset:8064
	v_fma_f64 v[152:153], v[122:123], v[116:117], v[120:121]
	global_load_b128 v[120:123], v[124:125], off offset:912
	s_waitcnt vmcnt(0) lgkmcnt(0)
	v_mul_f64 v[130:131], v[128:129], v[122:123]
	s_delay_alu instid0(VALU_DEP_1) | instskip(SKIP_1) | instid1(VALU_DEP_2)
	v_fma_f64 v[154:155], v[126:127], v[120:121], -v[130:131]
	v_mul_f64 v[126:127], v[126:127], v[122:123]
	v_add_f64 v[146:147], v[154:155], -v[150:151]
	s_delay_alu instid0(VALU_DEP_2)
	v_fma_f64 v[156:157], v[128:129], v[120:121], v[126:127]
	ds_load_b128 v[126:129], v217 offset:7056
	v_add_f64 v[186:187], v[150:151], v[154:155]
	v_add_f64 v[150:151], v[138:139], -v[142:143]
	s_waitcnt lgkmcnt(0)
	v_mul_f64 v[130:131], v[128:129], v[118:119]
	v_add_f64 v[136:137], v[146:147], -v[138:139]
	v_add_f64 v[148:149], v[156:157], -v[152:153]
	v_add_f64 v[194:195], v[152:153], v[156:157]
	v_add_f64 v[138:139], v[146:147], v[138:139]
	v_add_f64 v[152:153], v[134:135], -v[144:145]
	v_add_f64 v[156:157], v[184:185], -v[182:183]
	;; [unrolled: 1-line block ×3, first 2 shown]
	v_fma_f64 v[174:175], v[126:127], v[116:117], -v[130:131]
	v_mul_f64 v[126:127], v[126:127], v[118:119]
	v_mul_f64 v[229:230], v[136:137], s[18:19]
	v_add_f64 v[140:141], v[148:149], -v[134:135]
	v_add_f64 v[134:135], v[148:149], v[134:135]
	v_add_f64 v[233:234], v[138:139], v[142:143]
	v_fma_f64 v[176:177], v[128:129], v[116:117], v[126:127]
	ds_load_b128 v[126:129], v217 offset:9072
	v_fma_f64 v[138:139], v[150:151], s[8:9], -v[229:230]
	v_mul_f64 v[231:232], v[140:141], s[18:19]
	v_add_f64 v[235:236], v[134:135], v[144:145]
	v_mul_f64 v[134:135], v[154:155], s[2:3]
	s_waitcnt lgkmcnt(0)
	v_mul_f64 v[130:131], v[128:129], v[122:123]
	v_fma_f64 v[140:141], v[233:234], s[12:13], v[138:139]
	v_fma_f64 v[138:139], v[152:153], s[8:9], -v[231:232]
	s_delay_alu instid0(VALU_DEP_4) | instskip(NEXT) | instid1(VALU_DEP_4)
	v_fma_f64 v[134:135], v[156:157], s[16:17], -v[134:135]
	v_fma_f64 v[178:179], v[126:127], v[120:121], -v[130:131]
	v_mul_f64 v[126:127], v[126:127], v[122:123]
	v_add_f64 v[130:131], v[200:201], v[198:199]
	v_fma_f64 v[138:139], v[235:236], s[12:13], v[138:139]
	s_delay_alu instid0(VALU_DEP_4) | instskip(NEXT) | instid1(VALU_DEP_4)
	v_add_f64 v[202:203], v[174:175], v[178:179]
	v_fma_f64 v[180:181], v[128:129], v[120:121], v[126:127]
	v_add_f64 v[126:127], v[184:185], v[182:183]
	v_add_f64 v[182:183], v[182:183], -v[186:187]
	v_add_f64 v[184:185], v[194:195], -v[192:193]
	;; [unrolled: 1-line block ×4, first 2 shown]
	v_add_f64 v[204:205], v[202:203], v[130:131]
	v_add_f64 v[225:226], v[176:177], v[180:181]
	;; [unrolled: 1-line block ×5, first 2 shown]
	v_add_f64 v[192:193], v[192:193], -v[190:191]
	v_add_f64 v[186:187], v[190:191], -v[194:195]
	;; [unrolled: 1-line block ×3, first 2 shown]
	v_mul_f64 v[142:143], v[150:151], s[8:9]
	v_mul_f64 v[150:151], v[182:183], s[22:23]
	v_add_f64 v[172:173], v[180:181], -v[176:177]
	v_add_f64 v[160:161], v[170:171], -v[162:163]
	v_mul_f64 v[136:137], v[184:185], s[2:3]
	v_add_f64 v[162:163], v[170:171], v[162:163]
	v_add_f64 v[176:177], v[158:159], -v[168:169]
	v_add_f64 v[178:179], v[202:203], -v[200:201]
	;; [unrolled: 1-line block ×5, first 2 shown]
	v_add_f64 v[196:197], v[194:195], v[126:127]
	ds_load_b128 v[126:129], v217
	v_add_f64 v[227:228], v[225:226], v[130:131]
	ds_load_b128 v[130:133], v217 offset:1008
	v_add_f64 v[194:195], v[144:145], -v[148:149]
	v_mul_f64 v[144:145], v[152:153], s[8:9]
	v_mul_f64 v[152:153], v[186:187], s[22:23]
	v_fma_f64 v[146:147], v[156:157], s[24:25], -v[150:151]
	v_fma_f64 v[142:143], v[190:191], s[26:27], -v[142:143]
	v_fma_f64 v[150:151], v[154:155], s[2:3], v[150:151]
	v_add_f64 v[164:165], v[172:173], -v[158:159]
	v_add_f64 v[158:159], v[172:173], v[158:159]
	v_mul_f64 v[186:187], v[160:161], s[18:19]
	v_fma_f64 v[136:137], v[192:193], s[16:17], -v[136:137]
	s_waitcnt lgkmcnt(0)
	s_barrier
	buffer_gl0_inv
	v_add_f64 v[126:127], v[126:127], v[188:189]
	v_add_f64 v[130:131], v[130:131], v[204:205]
	;; [unrolled: 1-line block ×4, first 2 shown]
	v_fma_f64 v[144:145], v[194:195], s[26:27], -v[144:145]
	v_fma_f64 v[148:149], v[192:193], s[24:25], -v[152:153]
	v_fma_f64 v[152:153], v[184:185], s[2:3], v[152:153]
	v_fma_f64 v[156:157], v[233:234], s[12:13], v[142:143]
	v_add_f64 v[192:193], v[158:159], v[168:169]
	v_mul_f64 v[158:159], v[178:179], s[2:3]
	v_fma_f64 v[188:189], v[188:189], s[14:15], v[126:127]
	v_fma_f64 v[196:197], v[196:197], s[14:15], v[128:129]
	;; [unrolled: 1-line block ×3, first 2 shown]
	s_delay_alu instid0(VALU_DEP_4) | instskip(NEXT) | instid1(VALU_DEP_4)
	v_fma_f64 v[158:159], v[180:181], s[16:17], -v[158:159]
	v_add_f64 v[146:147], v[146:147], v[188:189]
	v_add_f64 v[237:238], v[134:135], v[188:189]
	;; [unrolled: 1-line block ×5, first 2 shown]
	v_fma_f64 v[196:197], v[227:228], s[14:15], v[132:133]
	v_add_f64 v[142:143], v[182:183], v[146:147]
	v_add_f64 v[146:147], v[146:147], -v[182:183]
	v_fma_f64 v[182:183], v[194:195], s[20:21], v[231:232]
	v_fma_f64 v[194:195], v[204:205], s[14:15], v[130:131]
	v_add_f64 v[134:135], v[237:238], -v[138:139]
	v_add_f64 v[138:139], v[138:139], v[237:238]
	v_add_f64 v[144:145], v[148:149], -v[156:157]
	v_add_f64 v[148:149], v[156:157], v[148:149]
	v_fma_f64 v[156:157], v[190:191], s[20:21], v[229:230]
	v_add_f64 v[190:191], v[162:163], v[166:167]
	v_fma_f64 v[162:163], v[174:175], s[8:9], -v[186:187]
	v_mul_f64 v[166:167], v[174:175], s[8:9]
	v_mul_f64 v[174:175], v[198:199], s[22:23]
	v_add_f64 v[136:137], v[140:141], v[239:240]
	v_add_f64 v[140:141], v[239:240], -v[140:141]
	v_fma_f64 v[154:155], v[235:236], s[12:13], v[182:183]
	v_add_f64 v[182:183], v[150:151], v[188:189]
	v_mul_f64 v[188:189], v[164:165], s[18:19]
	v_add_f64 v[200:201], v[158:159], v[194:195]
	v_fma_f64 v[156:157], v[233:234], s[12:13], v[156:157]
	v_fma_f64 v[164:165], v[190:191], s[12:13], v[162:163]
	v_fma_f64 v[166:167], v[202:203], s[26:27], -v[166:167]
	v_fma_f64 v[170:171], v[180:181], s[24:25], -v[174:175]
	v_fma_f64 v[174:175], v[178:179], s[2:3], v[174:175]
	v_add_f64 v[150:151], v[154:155], v[182:183]
	v_add_f64 v[154:155], v[182:183], -v[154:155]
	v_add_f64 v[182:183], v[225:226], -v[223:224]
	v_fma_f64 v[162:163], v[176:177], s[8:9], -v[188:189]
	v_add_f64 v[152:153], v[184:185], -v[156:157]
	v_add_f64 v[156:157], v[156:157], v[184:185]
	v_add_f64 v[184:185], v[223:224], -v[206:207]
	v_fma_f64 v[180:181], v[190:191], s[12:13], v[166:167]
	v_add_f64 v[170:171], v[170:171], v[194:195]
	v_mul_f64 v[160:161], v[182:183], s[2:3]
	v_fma_f64 v[162:163], v[192:193], s[12:13], v[162:163]
	s_delay_alu instid0(VALU_DEP_2) | instskip(NEXT) | instid1(VALU_DEP_2)
	v_fma_f64 v[160:161], v[184:185], s[16:17], -v[160:161]
	v_add_f64 v[158:159], v[200:201], -v[162:163]
	v_add_f64 v[162:163], v[162:163], v[200:201]
	v_add_f64 v[200:201], v[206:207], -v[225:226]
	s_delay_alu instid0(VALU_DEP_4) | instskip(NEXT) | instid1(VALU_DEP_1)
	v_add_f64 v[204:205], v[160:161], v[196:197]
	v_add_f64 v[160:161], v[164:165], v[204:205]
	v_add_f64 v[164:165], v[204:205], -v[164:165]
	v_add_f64 v[204:205], v[168:169], -v[172:173]
	v_mul_f64 v[168:169], v[176:177], s[8:9]
	v_mul_f64 v[176:177], v[200:201], s[22:23]
	s_delay_alu instid0(VALU_DEP_2) | instskip(NEXT) | instid1(VALU_DEP_2)
	v_fma_f64 v[168:169], v[204:205], s[26:27], -v[168:169]
	v_fma_f64 v[172:173], v[184:185], s[24:25], -v[176:177]
	v_fma_f64 v[176:177], v[182:183], s[2:3], v[176:177]
	v_add_f64 v[182:183], v[174:175], v[194:195]
	s_delay_alu instid0(VALU_DEP_4) | instskip(NEXT) | instid1(VALU_DEP_4)
	v_fma_f64 v[184:185], v[192:193], s[12:13], v[168:169]
	v_add_f64 v[172:173], v[172:173], v[196:197]
	s_delay_alu instid0(VALU_DEP_2) | instskip(NEXT) | instid1(VALU_DEP_2)
	v_add_f64 v[166:167], v[184:185], v[170:171]
	v_add_f64 v[168:169], v[172:173], -v[180:181]
	v_add_f64 v[170:171], v[170:171], -v[184:185]
	v_add_f64 v[172:173], v[180:181], v[172:173]
	v_fma_f64 v[180:181], v[202:203], s[20:21], v[186:187]
	v_fma_f64 v[184:185], v[204:205], s[20:21], v[188:189]
	s_delay_alu instid0(VALU_DEP_2) | instskip(NEXT) | instid1(VALU_DEP_2)
	v_fma_f64 v[180:181], v[190:191], s[12:13], v[180:181]
	v_fma_f64 v[178:179], v[192:193], s[12:13], v[184:185]
	v_add_f64 v[184:185], v[176:177], v[196:197]
	s_delay_alu instid0(VALU_DEP_2) | instskip(NEXT) | instid1(VALU_DEP_2)
	v_add_f64 v[174:175], v[178:179], v[182:183]
	v_add_f64 v[176:177], v[184:185], -v[180:181]
	v_add_f64 v[178:179], v[182:183], -v[178:179]
	v_add_f64 v[180:181], v[180:181], v[184:185]
	ds_store_b128 v217, v[126:129]
	ds_store_b128 v217, v[130:133] offset:7056
	ds_store_b128 v217, v[150:153] offset:1008
	ds_store_b128 v217, v[142:145] offset:2016
	ds_store_b128 v217, v[134:137] offset:3024
	ds_store_b128 v217, v[138:141] offset:4032
	ds_store_b128 v217, v[146:149] offset:5040
	ds_store_b128 v217, v[154:157] offset:6048
	ds_store_b128 v217, v[174:177] offset:8064
	ds_store_b128 v217, v[166:169] offset:9072
	ds_store_b128 v217, v[158:161] offset:10080
	ds_store_b128 v217, v[162:165] offset:11088
	ds_store_b128 v217, v[170:173] offset:12096
	ds_store_b128 v217, v[178:181] offset:13104
	v_mul_i32_i24_e32 v126, 0xffffffb0, v218
	s_waitcnt lgkmcnt(0)
	s_barrier
	buffer_gl0_inv
	ds_load_b128 v[128:131], v217 offset:7056
	v_add_co_u32 v154, s0, v124, v126
	v_mul_hi_i32_i24_e32 v124, 0xffffffb0, v218
	s_delay_alu instid0(VALU_DEP_1) | instskip(NEXT) | instid1(VALU_DEP_3)
	v_add_co_ci_u32_e64 v155, s0, v125, v124, s0
	v_add_co_u32 v132, s0, 0x1000, v154
	s_delay_alu instid0(VALU_DEP_1) | instskip(SKIP_1) | instid1(VALU_DEP_1)
	v_add_co_ci_u32_e64 v133, s0, 0, v155, s0
	v_add_co_u32 v148, s0, 0x2000, v154
	v_add_co_ci_u32_e64 v149, s0, 0, v155, s0
	global_load_b128 v[124:127], v[132:133], off offset:2816
	s_waitcnt vmcnt(0) lgkmcnt(0)
	v_mul_f64 v[134:135], v[130:131], v[126:127]
	s_delay_alu instid0(VALU_DEP_1) | instskip(SKIP_1) | instid1(VALU_DEP_1)
	v_fma_f64 v[156:157], v[128:129], v[124:125], -v[134:135]
	v_mul_f64 v[128:129], v[128:129], v[126:127]
	v_fma_f64 v[158:159], v[130:131], v[124:125], v[128:129]
	global_load_b128 v[128:131], v[132:133], off offset:3824
	ds_load_b128 v[132:135], v217 offset:8064
	s_waitcnt vmcnt(0) lgkmcnt(0)
	v_mul_f64 v[136:137], v[134:135], v[130:131]
	s_delay_alu instid0(VALU_DEP_1)
	v_fma_f64 v[160:161], v[132:133], v[128:129], -v[136:137]
	v_mul_f64 v[132:133], v[132:133], v[130:131]
	ds_load_b128 v[136:139], v217 offset:9072
	v_fma_f64 v[162:163], v[134:135], v[128:129], v[132:133]
	global_load_b128 v[132:135], v[148:149], off offset:736
	s_waitcnt vmcnt(0) lgkmcnt(0)
	v_mul_f64 v[140:141], v[138:139], v[134:135]
	s_delay_alu instid0(VALU_DEP_1)
	v_fma_f64 v[164:165], v[136:137], v[132:133], -v[140:141]
	v_mul_f64 v[136:137], v[136:137], v[134:135]
	ds_load_b128 v[140:143], v217 offset:10080
	v_fma_f64 v[166:167], v[138:139], v[132:133], v[136:137]
	global_load_b128 v[136:139], v[148:149], off offset:1744
	;; [unrolled: 8-line block ×3, first 2 shown]
	s_waitcnt vmcnt(0) lgkmcnt(0)
	v_mul_f64 v[150:151], v[146:147], v[142:143]
	s_delay_alu instid0(VALU_DEP_1) | instskip(SKIP_1) | instid1(VALU_DEP_1)
	v_fma_f64 v[204:205], v[144:145], v[140:141], -v[150:151]
	v_mul_f64 v[144:145], v[144:145], v[142:143]
	v_fma_f64 v[206:207], v[146:147], v[140:141], v[144:145]
	global_load_b128 v[144:147], v[148:149], off offset:3760
	ds_load_b128 v[148:151], v217 offset:12096
	s_waitcnt vmcnt(0) lgkmcnt(0)
	v_mul_f64 v[152:153], v[150:151], v[146:147]
	s_delay_alu instid0(VALU_DEP_1) | instskip(SKIP_1) | instid1(VALU_DEP_1)
	v_fma_f64 v[223:224], v[148:149], v[144:145], -v[152:153]
	v_mul_f64 v[148:149], v[148:149], v[146:147]
	v_fma_f64 v[225:226], v[150:151], v[144:145], v[148:149]
	v_add_co_u32 v148, s0, 0x3000, v154
	s_delay_alu instid0(VALU_DEP_1) | instskip(SKIP_4) | instid1(VALU_DEP_1)
	v_add_co_ci_u32_e64 v149, s0, 0, v155, s0
	ds_load_b128 v[152:155], v217 offset:13104
	global_load_b128 v[148:151], v[148:149], off offset:672
	s_waitcnt vmcnt(0) lgkmcnt(0)
	v_mul_f64 v[172:173], v[154:155], v[150:151]
	v_fma_f64 v[227:228], v[152:153], v[148:149], -v[172:173]
	v_mul_f64 v[152:153], v[152:153], v[150:151]
	s_delay_alu instid0(VALU_DEP_1)
	v_fma_f64 v[229:230], v[154:155], v[148:149], v[152:153]
	ds_load_b128 v[152:155], v217
	s_waitcnt lgkmcnt(0)
	v_add_f64 v[172:173], v[152:153], -v[156:157]
	v_add_f64 v[174:175], v[154:155], -v[158:159]
	ds_load_b128 v[156:159], v217 offset:4032
	v_fma_f64 v[176:177], v[152:153], 2.0, -v[172:173]
	v_fma_f64 v[178:179], v[154:155], 2.0, -v[174:175]
	ds_load_b128 v[152:155], v217 offset:1008
	s_waitcnt lgkmcnt(0)
	v_add_f64 v[180:181], v[152:153], -v[160:161]
	v_add_f64 v[182:183], v[154:155], -v[162:163]
	ds_load_b128 v[160:163], v217 offset:6048
	v_fma_f64 v[184:185], v[152:153], 2.0, -v[180:181]
	v_fma_f64 v[186:187], v[154:155], 2.0, -v[182:183]
	ds_load_b128 v[152:155], v217 offset:2016
	s_waitcnt lgkmcnt(0)
	v_add_f64 v[188:189], v[152:153], -v[164:165]
	v_add_f64 v[190:191], v[154:155], -v[166:167]
	s_delay_alu instid0(VALU_DEP_2) | instskip(NEXT) | instid1(VALU_DEP_2)
	v_fma_f64 v[192:193], v[152:153], 2.0, -v[188:189]
	v_fma_f64 v[194:195], v[154:155], 2.0, -v[190:191]
	ds_load_b128 v[152:155], v217 offset:3024
	s_waitcnt lgkmcnt(0)
	v_add_f64 v[196:197], v[152:153], -v[168:169]
	v_add_f64 v[198:199], v[154:155], -v[170:171]
	s_delay_alu instid0(VALU_DEP_2) | instskip(NEXT) | instid1(VALU_DEP_2)
	v_fma_f64 v[200:201], v[152:153], 2.0, -v[196:197]
	v_fma_f64 v[202:203], v[154:155], 2.0, -v[198:199]
	v_add_f64 v[152:153], v[156:157], -v[204:205]
	v_add_f64 v[154:155], v[158:159], -v[206:207]
	s_delay_alu instid0(VALU_DEP_2) | instskip(NEXT) | instid1(VALU_DEP_2)
	v_fma_f64 v[204:205], v[156:157], 2.0, -v[152:153]
	v_fma_f64 v[206:207], v[158:159], 2.0, -v[154:155]
	ds_load_b128 v[156:159], v217 offset:5040
	s_waitcnt lgkmcnt(0)
	v_add_f64 v[168:169], v[156:157], -v[223:224]
	v_add_f64 v[170:171], v[158:159], -v[225:226]
	s_delay_alu instid0(VALU_DEP_2) | instskip(NEXT) | instid1(VALU_DEP_2)
	v_fma_f64 v[164:165], v[156:157], 2.0, -v[168:169]
	v_fma_f64 v[166:167], v[158:159], 2.0, -v[170:171]
	v_add_f64 v[156:157], v[160:161], -v[227:228]
	v_add_f64 v[158:159], v[162:163], -v[229:230]
	s_delay_alu instid0(VALU_DEP_2) | instskip(NEXT) | instid1(VALU_DEP_2)
	v_fma_f64 v[160:161], v[160:161], 2.0, -v[156:157]
	v_fma_f64 v[162:163], v[162:163], 2.0, -v[158:159]
	ds_store_b128 v217, v[180:183] offset:8064
	ds_store_b128 v217, v[188:191] offset:9072
	;; [unrolled: 1-line block ×4, first 2 shown]
	ds_store_b128 v217, v[176:179]
	ds_store_b128 v217, v[184:187] offset:1008
	ds_store_b128 v217, v[192:195] offset:2016
	;; [unrolled: 1-line block ×9, first 2 shown]
	s_waitcnt lgkmcnt(0)
	s_barrier
	buffer_gl0_inv
	global_load_b128 v[172:175], v[212:213], off offset:1824
	ds_load_b128 v[176:179], v217
	ds_load_b128 v[194:197], v217 offset:4704
	ds_load_b128 v[227:230], v217 offset:9408
	;; [unrolled: 1-line block ×6, first 2 shown]
	s_waitcnt vmcnt(0) lgkmcnt(6)
	v_mul_f64 v[180:181], v[178:179], v[174:175]
	v_mul_f64 v[182:183], v[176:177], v[174:175]
	s_delay_alu instid0(VALU_DEP_2) | instskip(NEXT) | instid1(VALU_DEP_2)
	v_fma_f64 v[174:175], v[176:177], v[172:173], -v[180:181]
	v_fma_f64 v[176:177], v[178:179], v[172:173], v[182:183]
	v_add_co_u32 v172, s0, 0x3720, v214
	s_delay_alu instid0(VALU_DEP_1)
	v_add_co_ci_u32_e64 v173, s0, 0, v215, s0
	ds_load_b128 v[182:185], v217 offset:1568
	global_load_b128 v[178:181], v[172:173], off offset:1568
	s_waitcnt vmcnt(0) lgkmcnt(0)
	v_mul_f64 v[186:187], v[184:185], v[180:181]
	v_mul_f64 v[188:189], v[182:183], v[180:181]
	s_delay_alu instid0(VALU_DEP_2) | instskip(NEXT) | instid1(VALU_DEP_2)
	v_fma_f64 v[180:181], v[182:183], v[178:179], -v[186:187]
	v_fma_f64 v[182:183], v[184:185], v[178:179], v[188:189]
	global_load_b128 v[184:187], v[172:173], off offset:3136
	ds_load_b128 v[188:191], v217 offset:3136
	s_waitcnt vmcnt(0) lgkmcnt(0)
	v_mul_f64 v[178:179], v[190:191], v[186:187]
	v_mul_f64 v[192:193], v[188:189], v[186:187]
	s_delay_alu instid0(VALU_DEP_2) | instskip(SKIP_1) | instid1(VALU_DEP_1)
	v_fma_f64 v[186:187], v[188:189], v[184:185], -v[178:179]
	v_add_co_u32 v178, s0, 0x4000, v214
	v_add_co_ci_u32_e64 v179, s0, 0, v215, s0
	s_delay_alu instid0(VALU_DEP_4) | instskip(SKIP_4) | instid1(VALU_DEP_2)
	v_fma_f64 v[188:189], v[190:191], v[184:185], v[192:193]
	global_load_b128 v[190:193], v[178:179], off offset:2432
	s_waitcnt vmcnt(0)
	v_mul_f64 v[184:185], v[196:197], v[192:193]
	v_mul_f64 v[198:199], v[194:195], v[192:193]
	v_fma_f64 v[192:193], v[194:195], v[190:191], -v[184:185]
	s_delay_alu instid0(VALU_DEP_2) | instskip(SKIP_4) | instid1(VALU_DEP_2)
	v_fma_f64 v[194:195], v[196:197], v[190:191], v[198:199]
	global_load_b128 v[196:199], v[178:179], off offset:4000
	s_waitcnt vmcnt(0)
	v_mul_f64 v[178:179], v[202:203], v[198:199]
	v_mul_f64 v[184:185], v[200:201], v[198:199]
	v_fma_f64 v[198:199], v[200:201], v[196:197], -v[178:179]
	v_add_co_u32 v178, s0, 0x5000, v214
	s_delay_alu instid0(VALU_DEP_1) | instskip(NEXT) | instid1(VALU_DEP_4)
	v_add_co_ci_u32_e64 v179, s0, 0, v215, s0
	v_fma_f64 v[200:201], v[202:203], v[196:197], v[184:185]
	global_load_b128 v[202:205], v[178:179], off offset:1472
	s_waitcnt vmcnt(0)
	v_mul_f64 v[184:185], v[225:226], v[204:205]
	v_mul_f64 v[190:191], v[223:224], v[204:205]
	s_delay_alu instid0(VALU_DEP_2) | instskip(NEXT) | instid1(VALU_DEP_2)
	v_fma_f64 v[204:205], v[223:224], v[202:203], -v[184:185]
	v_fma_f64 v[206:207], v[225:226], v[202:203], v[190:191]
	global_load_b128 v[223:226], v[178:179], off offset:3040
	s_waitcnt vmcnt(0)
	v_mul_f64 v[178:179], v[229:230], v[225:226]
	v_mul_f64 v[184:185], v[227:228], v[225:226]
	s_delay_alu instid0(VALU_DEP_2) | instskip(SKIP_1) | instid1(VALU_DEP_1)
	v_fma_f64 v[225:226], v[227:228], v[223:224], -v[178:179]
	v_add_co_u32 v178, s0, 0x6000, v214
	v_add_co_ci_u32_e64 v179, s0, 0, v215, s0
	s_delay_alu instid0(VALU_DEP_4) | instskip(SKIP_4) | instid1(VALU_DEP_2)
	v_fma_f64 v[227:228], v[229:230], v[223:224], v[184:185]
	global_load_b128 v[229:232], v[178:179], off offset:512
	s_waitcnt vmcnt(0)
	v_mul_f64 v[184:185], v[235:236], v[231:232]
	v_mul_f64 v[190:191], v[233:234], v[231:232]
	v_fma_f64 v[231:232], v[233:234], v[229:230], -v[184:185]
	s_delay_alu instid0(VALU_DEP_2) | instskip(SKIP_4) | instid1(VALU_DEP_2)
	v_fma_f64 v[233:234], v[235:236], v[229:230], v[190:191]
	global_load_b128 v[235:238], v[178:179], off offset:2080
	s_waitcnt vmcnt(0)
	v_mul_f64 v[178:179], v[241:242], v[237:238]
	v_mul_f64 v[184:185], v[239:240], v[237:238]
	v_fma_f64 v[237:238], v[239:240], v[235:236], -v[178:179]
	s_delay_alu instid0(VALU_DEP_2)
	v_fma_f64 v[239:240], v[241:242], v[235:236], v[184:185]
	ds_store_b128 v217, v[174:177]
	ds_store_b128 v217, v[180:183] offset:1568
	ds_store_b128 v217, v[186:189] offset:3136
	ds_store_b128 v217, v[192:195] offset:4704
	ds_store_b128 v217, v[198:201] offset:6272
	ds_store_b128 v217, v[204:207] offset:7840
	ds_store_b128 v217, v[225:228] offset:9408
	ds_store_b128 v217, v[231:234] offset:10976
	ds_store_b128 v217, v[237:240] offset:12544
	s_and_saveexec_b32 s1, vcc_lo
	s_cbranch_execz .LBB0_9
; %bb.8:
	s_clause 0x1
	global_load_b128 v[174:177], v[172:173], off offset:1008
	global_load_b128 v[178:181], v[172:173], off offset:2576
	v_add_co_u32 v190, s0, 0x1000, v172
	s_delay_alu instid0(VALU_DEP_1)
	v_add_co_ci_u32_e64 v191, s0, 0, v173, s0
	v_add_co_u32 v227, s0, 0x2000, v172
	s_clause 0x2
	global_load_b128 v[182:185], v[190:191], off offset:48
	global_load_b128 v[186:189], v[190:191], off offset:1616
	;; [unrolled: 1-line block ×3, first 2 shown]
	ds_load_b128 v[194:197], v217 offset:1008
	ds_load_b128 v[198:201], v217 offset:2576
	v_add_co_ci_u32_e64 v228, s0, 0, v173, s0
	v_add_co_u32 v172, s0, 0x3000, v172
	s_delay_alu instid0(VALU_DEP_1)
	v_add_co_ci_u32_e64 v173, s0, 0, v173, s0
	ds_load_b128 v[223:226], v217 offset:10416
	ds_load_b128 v[233:236], v217 offset:13552
	s_waitcnt vmcnt(4) lgkmcnt(3)
	v_mul_f64 v[202:203], v[196:197], v[176:177]
	v_mul_f64 v[176:177], v[194:195], v[176:177]
	s_delay_alu instid0(VALU_DEP_2) | instskip(SKIP_3) | instid1(VALU_DEP_4)
	v_fma_f64 v[194:195], v[194:195], v[174:175], -v[202:203]
	s_waitcnt vmcnt(3) lgkmcnt(2)
	v_mul_f64 v[202:203], v[200:201], v[180:181]
	v_mul_f64 v[180:181], v[198:199], v[180:181]
	v_fma_f64 v[196:197], v[196:197], v[174:175], v[176:177]
	ds_load_b128 v[174:177], v217 offset:4144
	v_fma_f64 v[198:199], v[198:199], v[178:179], -v[202:203]
	v_fma_f64 v[200:201], v[200:201], v[178:179], v[180:181]
	ds_load_b128 v[178:181], v217 offset:5712
	s_waitcnt vmcnt(2) lgkmcnt(1)
	v_mul_f64 v[202:203], v[176:177], v[184:185]
	v_mul_f64 v[184:185], v[174:175], v[184:185]
	s_delay_alu instid0(VALU_DEP_2) | instskip(SKIP_3) | instid1(VALU_DEP_4)
	v_fma_f64 v[174:175], v[174:175], v[182:183], -v[202:203]
	s_waitcnt vmcnt(1) lgkmcnt(0)
	v_mul_f64 v[202:203], v[180:181], v[188:189]
	v_mul_f64 v[188:189], v[178:179], v[188:189]
	v_fma_f64 v[176:177], v[176:177], v[182:183], v[184:185]
	ds_load_b128 v[182:185], v217 offset:7280
	v_fma_f64 v[178:179], v[178:179], v[186:187], -v[202:203]
	v_fma_f64 v[180:181], v[180:181], v[186:187], v[188:189]
	s_waitcnt vmcnt(0) lgkmcnt(0)
	v_mul_f64 v[186:187], v[184:185], v[192:193]
	v_mul_f64 v[188:189], v[182:183], v[192:193]
	s_delay_alu instid0(VALU_DEP_2) | instskip(NEXT) | instid1(VALU_DEP_2)
	v_fma_f64 v[182:183], v[182:183], v[190:191], -v[186:187]
	v_fma_f64 v[184:185], v[184:185], v[190:191], v[188:189]
	global_load_b128 v[186:189], v[227:228], off offset:656
	ds_load_b128 v[190:193], v217 offset:8848
	s_waitcnt vmcnt(0) lgkmcnt(0)
	v_mul_f64 v[202:203], v[192:193], v[188:189]
	v_mul_f64 v[204:205], v[190:191], v[188:189]
	s_delay_alu instid0(VALU_DEP_2) | instskip(NEXT) | instid1(VALU_DEP_2)
	v_fma_f64 v[188:189], v[190:191], v[186:187], -v[202:203]
	v_fma_f64 v[190:191], v[192:193], v[186:187], v[204:205]
	global_load_b128 v[202:205], v[227:228], off offset:2224
	s_waitcnt vmcnt(0)
	v_mul_f64 v[186:187], v[225:226], v[204:205]
	v_mul_f64 v[192:193], v[223:224], v[204:205]
	s_delay_alu instid0(VALU_DEP_2) | instskip(NEXT) | instid1(VALU_DEP_2)
	v_fma_f64 v[204:205], v[223:224], v[202:203], -v[186:187]
	v_fma_f64 v[206:207], v[225:226], v[202:203], v[192:193]
	global_load_b128 v[223:226], v[227:228], off offset:3792
	ds_load_b128 v[227:230], v217 offset:11984
	s_waitcnt vmcnt(0) lgkmcnt(0)
	v_mul_f64 v[186:187], v[229:230], v[225:226]
	v_mul_f64 v[192:193], v[227:228], v[225:226]
	s_delay_alu instid0(VALU_DEP_2) | instskip(NEXT) | instid1(VALU_DEP_2)
	v_fma_f64 v[225:226], v[227:228], v[223:224], -v[186:187]
	v_fma_f64 v[227:228], v[229:230], v[223:224], v[192:193]
	global_load_b128 v[229:232], v[172:173], off offset:1264
	s_waitcnt vmcnt(0)
	v_mul_f64 v[172:173], v[235:236], v[231:232]
	v_mul_f64 v[186:187], v[233:234], v[231:232]
	s_delay_alu instid0(VALU_DEP_2) | instskip(NEXT) | instid1(VALU_DEP_2)
	v_fma_f64 v[231:232], v[233:234], v[229:230], -v[172:173]
	v_fma_f64 v[233:234], v[235:236], v[229:230], v[186:187]
	ds_store_b128 v217, v[194:197] offset:1008
	ds_store_b128 v217, v[198:201] offset:2576
	;; [unrolled: 1-line block ×9, first 2 shown]
.LBB0_9:
	s_or_b32 exec_lo, exec_lo, s1
	s_waitcnt lgkmcnt(0)
	s_barrier
	buffer_gl0_inv
	ds_load_b128 v[172:175], v217
	ds_load_b128 v[196:199], v217 offset:1568
	ds_load_b128 v[192:195], v217 offset:3136
	;; [unrolled: 1-line block ×8, first 2 shown]
	s_and_saveexec_b32 s0, vcc_lo
	s_cbranch_execz .LBB0_11
; %bb.10:
	ds_load_b128 v[152:155], v217 offset:1008
	ds_load_b128 v[164:167], v217 offset:2576
	;; [unrolled: 1-line block ×9, first 2 shown]
.LBB0_11:
	s_or_b32 exec_lo, exec_lo, s0
	s_waitcnt lgkmcnt(0)
	v_add_f64 v[223:224], v[196:197], -v[204:205]
	v_add_f64 v[196:197], v[196:197], v[204:205]
	v_add_f64 v[204:205], v[192:193], v[200:201]
	v_add_f64 v[225:226], v[198:199], -v[206:207]
	v_add_f64 v[198:199], v[198:199], v[206:207]
	v_add_f64 v[206:207], v[194:195], v[202:203]
	v_add_f64 v[192:193], v[192:193], -v[200:201]
	v_add_f64 v[200:201], v[184:185], v[188:189]
	v_add_f64 v[184:185], v[184:185], -v[188:189]
	v_add_f64 v[194:195], v[194:195], -v[202:203]
	v_add_f64 v[202:203], v[186:187], v[190:191]
	v_add_f64 v[186:187], v[186:187], -v[190:191]
	v_add_f64 v[231:232], v[180:181], -v[176:177]
	s_mov_b32 s20, 0x523c161c
	s_mov_b32 s8, 0x8c811c17
	;; [unrolled: 1-line block ×8, first 2 shown]
	v_add_f64 v[233:234], v[182:183], -v[178:179]
	s_mov_b32 s0, 0xe8584cab
	s_mov_b32 s22, 0x7e0b738b
	;; [unrolled: 1-line block ×10, first 2 shown]
	s_barrier
	buffer_gl0_inv
	v_mul_f64 v[243:244], v[223:224], s[20:21]
	v_add_f64 v[188:189], v[204:205], v[196:197]
	v_fma_f64 v[241:242], v[198:199], s[16:17], v[174:175]
	v_add_f64 v[227:228], v[206:207], v[198:199]
	v_fma_f64 v[235:236], v[206:207], s[16:17], v[174:175]
	v_mul_f64 v[245:246], v[231:232], s[14:15]
	v_mul_f64 v[247:248], v[231:232], s[8:9]
	v_mul_f64 v[249:250], v[233:234], s[14:15]
	v_mul_f64 v[251:252], v[233:234], s[8:9]
	v_fma_f64 v[243:244], v[192:193], s[8:9], v[243:244]
	v_add_f64 v[190:191], v[200:201], v[188:189]
	v_add_f64 v[229:230], v[202:203], v[227:228]
	v_fma_f64 v[245:246], v[223:224], s[8:9], v[245:246]
	v_fma_f64 v[247:248], v[192:193], s[14:15], -v[247:248]
	v_fma_f64 v[249:250], v[225:226], s[8:9], v[249:250]
	v_fma_f64 v[251:252], v[194:195], s[14:15], -v[251:252]
	v_fma_f64 v[243:244], v[184:185], s[0:1], v[243:244]
	v_add_f64 v[190:191], v[180:181], v[190:191]
	v_add_f64 v[180:181], v[180:181], v[176:177]
	;; [unrolled: 1-line block ×4, first 2 shown]
	v_fma_f64 v[245:246], v[184:185], s[2:3], v[245:246]
	v_fma_f64 v[184:185], v[184:185], s[0:1], v[247:248]
	v_mul_f64 v[247:248], v[225:226], s[20:21]
	v_fma_f64 v[249:250], v[186:187], s[2:3], v[249:250]
	v_add_f64 v[176:177], v[176:177], v[190:191]
	v_fma_f64 v[190:191], v[196:197], s[16:17], v[172:173]
	v_fma_f64 v[237:238], v[180:181], s[16:17], v[172:173]
	v_add_f64 v[178:179], v[178:179], v[229:230]
	v_fma_f64 v[229:230], v[204:205], s[16:17], v[172:173]
	v_add_f64 v[188:189], v[180:181], v[188:189]
	v_fma_f64 v[239:240], v[182:183], s[16:17], v[174:175]
	v_fma_f64 v[235:236], v[182:183], s[22:23], v[235:236]
	;; [unrolled: 1-line block ×3, first 2 shown]
	v_add_f64 v[176:177], v[172:173], v[176:177]
	v_add_f64 v[172:173], v[172:173], v[200:201]
	v_fma_f64 v[190:191], v[204:205], s[22:23], v[190:191]
	v_add_f64 v[178:179], v[174:175], v[178:179]
	v_add_f64 v[174:175], v[174:175], v[202:203]
	v_fma_f64 v[229:230], v[180:181], s[22:23], v[229:230]
	v_fma_f64 v[237:238], v[196:197], s[22:23], v[237:238]
	v_fma_f64 v[235:236], v[202:203], -0.5, v[235:236]
	v_fma_f64 v[247:248], v[186:187], s[0:1], v[247:248]
	v_fma_f64 v[186:187], v[186:187], s[0:1], v[251:252]
	v_fma_f64 v[172:173], v[188:189], -0.5, v[172:173]
	v_add_f64 v[188:189], v[182:183], v[227:228]
	v_fma_f64 v[190:191], v[200:201], -0.5, v[190:191]
	v_fma_f64 v[227:228], v[231:232], s[12:13], v[243:244]
	v_fma_f64 v[229:230], v[200:201], -0.5, v[229:230]
	v_fma_f64 v[200:201], v[200:201], -0.5, v[237:238]
	v_fma_f64 v[237:238], v[198:199], s[22:23], v[239:240]
	v_fma_f64 v[239:240], v[206:207], s[22:23], v[241:242]
	;; [unrolled: 1-line block ×3, first 2 shown]
	v_fma_f64 v[174:175], v[188:189], -0.5, v[174:175]
	v_add_f64 v[188:189], v[231:232], v[223:224]
	v_fma_f64 v[223:224], v[223:224], s[12:13], v[184:185]
	v_fma_f64 v[184:185], v[196:197], s[18:19], v[229:230]
	;; [unrolled: 1-line block ×3, first 2 shown]
	v_fma_f64 v[237:238], v[202:203], -0.5, v[237:238]
	v_fma_f64 v[202:203], v[202:203], -0.5, v[239:240]
	v_fma_f64 v[239:240], v[192:193], s[12:13], v[245:246]
	v_add_f64 v[231:232], v[188:189], -v[192:193]
	v_add_f64 v[188:189], v[233:234], v[225:226]
	v_fma_f64 v[233:234], v[194:195], s[12:13], v[249:250]
	v_fma_f64 v[225:226], v[225:226], s[12:13], v[186:187]
	;; [unrolled: 1-line block ×5, first 2 shown]
	v_add_f64 v[192:193], v[188:189], -v[194:195]
	v_fma_f64 v[194:195], v[206:207], s[18:19], v[237:238]
	v_fma_f64 v[188:189], v[204:205], s[18:19], v[200:201]
	v_add_f64 v[182:183], v[223:224], v[186:187]
	v_add_f64 v[180:181], v[184:185], -v[225:226]
	v_fma_f64 v[172:173], v[192:193], s[2:3], v[172:173]
	v_add_f64 v[186:187], v[239:240], v[194:195]
	v_mul_f64 v[192:193], v[192:193], s[0:1]
	v_mul_f64 v[194:195], v[231:232], s[0:1]
	v_add_f64 v[184:185], v[188:189], -v[233:234]
	v_add_f64 v[188:189], v[190:191], -v[241:242]
	v_add_f64 v[190:191], v[227:228], v[196:197]
	v_fma_f64 v[196:197], v[225:226], 2.0, v[180:181]
	v_fma_f64 v[198:199], v[223:224], -2.0, v[182:183]
	v_fma_f64 v[202:203], v[239:240], -2.0, v[186:187]
	v_fma_f64 v[192:193], v[192:193], 2.0, v[172:173]
	v_fma_f64 v[194:195], v[194:195], -2.0, v[174:175]
	v_fma_f64 v[200:201], v[233:234], 2.0, v[184:185]
	v_fma_f64 v[204:205], v[241:242], 2.0, v[188:189]
	v_fma_f64 v[206:207], v[227:228], -2.0, v[190:191]
	ds_store_b128 v220, v[172:175] offset:48
	ds_store_b128 v220, v[176:179]
	ds_store_b128 v220, v[188:191] offset:16
	ds_store_b128 v220, v[184:187] offset:32
	;; [unrolled: 1-line block ×7, first 2 shown]
	s_and_saveexec_b32 s24, vcc_lo
	s_cbranch_execz .LBB0_13
; %bb.12:
	v_add_f64 v[172:173], v[156:157], -v[36:37]
	v_add_f64 v[174:175], v[170:171], v[58:59]
	v_add_f64 v[176:177], v[158:159], -v[38:39]
	v_add_f64 v[178:179], v[168:169], v[56:57]
	v_add_f64 v[180:181], v[158:159], v[38:39]
	;; [unrolled: 1-line block ×3, first 2 shown]
	v_add_f64 v[184:185], v[164:165], -v[60:61]
	v_add_f64 v[186:187], v[166:167], v[62:63]
	v_add_f64 v[60:61], v[164:165], v[60:61]
	v_add_f64 v[62:63], v[166:167], -v[62:63]
	v_add_f64 v[56:57], v[168:169], -v[56:57]
	;; [unrolled: 1-line block ×3, first 2 shown]
	v_add_f64 v[204:205], v[162:163], v[42:43]
	v_add_f64 v[206:207], v[160:161], v[40:41]
	v_add_f64 v[40:41], v[160:161], -v[40:41]
	v_add_f64 v[42:43], v[162:163], -v[42:43]
	v_mul_f64 v[164:165], v[172:173], s[8:9]
	v_fma_f64 v[166:167], v[174:175], s[16:17], v[154:155]
	v_mul_f64 v[168:169], v[176:177], s[8:9]
	v_fma_f64 v[170:171], v[178:179], s[16:17], v[152:153]
	;; [unrolled: 2-line block ×3, first 2 shown]
	v_fma_f64 v[192:193], v[182:183], s[16:17], v[152:153]
	v_mul_f64 v[194:195], v[176:177], s[14:15]
	v_mul_f64 v[196:197], v[184:185], s[20:21]
	v_fma_f64 v[198:199], v[186:187], s[16:17], v[154:155]
	v_fma_f64 v[200:201], v[60:61], s[16:17], v[152:153]
	v_mul_f64 v[202:203], v[62:63], s[20:21]
	v_add_f64 v[223:224], v[174:175], v[186:187]
	v_add_f64 v[225:226], v[178:179], v[60:61]
	;; [unrolled: 1-line block ×4, first 2 shown]
	v_fma_f64 v[160:161], v[56:57], s[14:15], -v[164:165]
	v_fma_f64 v[162:163], v[180:181], s[22:23], v[166:167]
	v_fma_f64 v[164:165], v[58:59], s[14:15], -v[168:169]
	v_fma_f64 v[166:167], v[182:183], s[22:23], v[170:171]
	v_fma_f64 v[168:169], v[184:185], s[8:9], v[188:189]
	;; [unrolled: 1-line block ×9, first 2 shown]
	v_add_f64 v[231:232], v[204:205], v[223:224]
	v_add_f64 v[233:234], v[206:207], v[225:226]
	;; [unrolled: 1-line block ×6, first 2 shown]
	v_fma_f64 v[160:161], v[40:41], s[0:1], v[160:161]
	v_fma_f64 v[162:163], v[204:205], -0.5, v[162:163]
	v_fma_f64 v[164:165], v[42:43], s[0:1], v[164:165]
	v_fma_f64 v[166:167], v[206:207], -0.5, v[166:167]
	;; [unrolled: 2-line block ×3, first 2 shown]
	v_fma_f64 v[188:189], v[206:207], -0.5, v[188:189]
	v_fma_f64 v[190:191], v[42:43], s[2:3], v[190:191]
	v_fma_f64 v[40:41], v[40:41], s[0:1], v[192:193]
	v_fma_f64 v[192:193], v[204:205], -0.5, v[194:195]
	v_fma_f64 v[194:195], v[206:207], -0.5, v[196:197]
	v_fma_f64 v[42:43], v[42:43], s[0:1], v[198:199]
	v_add_f64 v[158:159], v[158:159], v[231:232]
	v_add_f64 v[156:157], v[156:157], v[233:234]
	v_add_f64 v[196:197], v[200:201], -v[56:57]
	v_add_f64 v[198:199], v[229:230], -v[58:59]
	v_fma_f64 v[200:201], v[223:224], -0.5, v[202:203]
	v_fma_f64 v[202:203], v[225:226], -0.5, v[227:228]
	v_fma_f64 v[160:161], v[184:185], s[12:13], v[160:161]
	v_fma_f64 v[162:163], v[186:187], s[18:19], v[162:163]
	;; [unrolled: 1-line block ×12, first 2 shown]
	v_add_f64 v[158:159], v[38:39], v[158:159]
	v_add_f64 v[156:157], v[36:37], v[156:157]
	v_mul_f64 v[178:179], v[196:197], s[0:1]
	v_mul_f64 v[180:181], v[198:199], s[0:1]
	v_fma_f64 v[38:39], v[196:197], s[0:1], v[200:201]
	v_fma_f64 v[36:37], v[198:199], s[2:3], v[202:203]
	v_add_f64 v[42:43], v[160:161], v[162:163]
	v_add_f64 v[40:41], v[60:61], -v[164:165]
	v_add_f64 v[58:59], v[166:167], v[56:57]
	v_add_f64 v[56:57], v[62:63], -v[168:169]
	v_add_f64 v[62:63], v[170:171], v[172:173]
	v_lshlrev_b32_e32 v172, 4, v219
	v_add_f64 v[60:61], v[174:175], -v[176:177]
	v_add_f64 v[154:155], v[154:155], v[158:159]
	v_add_f64 v[152:153], v[152:153], v[156:157]
	v_fma_f64 v[158:159], v[178:179], -2.0, v[38:39]
	v_fma_f64 v[156:157], v[180:181], 2.0, v[36:37]
	v_fma_f64 v[162:163], v[160:161], -2.0, v[42:43]
	v_fma_f64 v[160:161], v[164:165], 2.0, v[40:41]
	;; [unrolled: 2-line block ×4, first 2 shown]
	ds_store_b128 v172, v[152:155]
	ds_store_b128 v172, v[60:63] offset:16
	ds_store_b128 v172, v[56:59] offset:32
	;; [unrolled: 1-line block ×8, first 2 shown]
.LBB0_13:
	s_or_b32 exec_lo, exec_lo, s24
	s_waitcnt lgkmcnt(0)
	s_barrier
	buffer_gl0_inv
	ds_load_b128 v[36:39], v217 offset:2016
	ds_load_b128 v[40:43], v217 offset:4032
	;; [unrolled: 1-line block ×12, first 2 shown]
	s_mov_b32 s12, 0x37e14327
	s_mov_b32 s0, 0x36b3c0b5
	;; [unrolled: 1-line block ×9, first 2 shown]
	s_waitcnt lgkmcnt(11)
	v_mul_f64 v[184:185], v[54:55], v[38:39]
	v_mul_f64 v[54:55], v[54:55], v[36:37]
	s_waitcnt lgkmcnt(10)
	v_mul_f64 v[186:187], v[50:51], v[42:43]
	v_mul_f64 v[50:51], v[50:51], v[40:41]
	;; [unrolled: 3-line block ×9, first 2 shown]
	v_mul_f64 v[202:203], v[94:95], v[170:171]
	v_mul_f64 v[94:95], v[94:95], v[168:169]
	s_mov_b32 s14, 0x5476071b
	s_mov_b32 s22, 0xb247c609
	;; [unrolled: 1-line block ×11, first 2 shown]
	v_fma_f64 v[36:37], v[52:53], v[36:37], v[184:185]
	v_fma_f64 v[38:39], v[52:53], v[38:39], -v[54:55]
	v_fma_f64 v[40:41], v[48:49], v[40:41], v[186:187]
	v_fma_f64 v[42:43], v[48:49], v[42:43], -v[50:51]
	;; [unrolled: 2-line block ×4, first 2 shown]
	s_waitcnt lgkmcnt(1)
	v_mul_f64 v[52:53], v[90:91], v[178:179]
	v_mul_f64 v[54:55], v[90:91], v[176:177]
	s_waitcnt lgkmcnt(0)
	v_mul_f64 v[56:57], v[98:99], v[182:183]
	v_mul_f64 v[58:59], v[98:99], v[180:181]
	v_fma_f64 v[60:61], v[68:69], v[152:153], v[192:193]
	v_fma_f64 v[62:63], v[68:69], v[154:155], -v[70:71]
	v_fma_f64 v[64:65], v[72:73], v[156:157], v[194:195]
	v_fma_f64 v[66:67], v[72:73], v[158:159], -v[74:75]
	;; [unrolled: 2-line block ×6, first 2 shown]
	v_add_f64 v[84:85], v[36:37], v[48:49]
	v_add_f64 v[86:87], v[38:39], v[44:45]
	;; [unrolled: 1-line block ×4, first 2 shown]
	v_fma_f64 v[52:53], v[88:89], v[176:177], v[52:53]
	v_fma_f64 v[54:55], v[88:89], v[178:179], -v[54:55]
	v_fma_f64 v[56:57], v[96:97], v[180:181], v[56:57]
	v_fma_f64 v[58:59], v[96:97], v[182:183], -v[58:59]
	v_add_f64 v[46:47], v[40:41], -v[46:47]
	v_add_f64 v[50:51], v[42:43], -v[50:51]
	;; [unrolled: 1-line block ×4, first 2 shown]
	v_add_f64 v[88:89], v[60:61], v[68:69]
	v_add_f64 v[94:95], v[62:63], v[70:71]
	;; [unrolled: 1-line block ×4, first 2 shown]
	v_add_f64 v[64:65], v[64:65], -v[72:73]
	v_add_f64 v[66:67], v[66:67], -v[74:75]
	v_add_f64 v[152:153], v[76:77], v[80:81]
	v_add_f64 v[154:155], v[78:79], v[82:83]
	v_add_f64 v[76:77], v[80:81], -v[76:77]
	v_add_f64 v[78:79], v[82:83], -v[78:79]
	ds_load_b128 v[36:39], v217
	ds_load_b128 v[40:43], v217 offset:1008
	s_waitcnt lgkmcnt(0)
	s_barrier
	buffer_gl0_inv
	v_add_f64 v[80:81], v[90:91], v[84:85]
	v_add_f64 v[82:83], v[92:93], v[86:87]
	v_add_f64 v[72:73], v[52:53], v[56:57]
	v_add_f64 v[74:75], v[54:55], v[58:59]
	v_add_f64 v[52:53], v[56:57], -v[52:53]
	v_add_f64 v[54:55], v[58:59], -v[54:55]
	;; [unrolled: 1-line block ×6, first 2 shown]
	v_add_f64 v[60:61], v[96:97], v[88:89]
	v_add_f64 v[62:63], v[98:99], v[94:95]
	v_add_f64 v[68:69], v[84:85], -v[152:153]
	v_add_f64 v[70:71], v[86:87], -v[154:155]
	;; [unrolled: 1-line block ×8, first 2 shown]
	v_add_f64 v[46:47], v[76:77], v[46:47]
	v_add_f64 v[50:51], v[78:79], v[50:51]
	v_add_f64 v[76:77], v[48:49], -v[76:77]
	v_add_f64 v[78:79], v[44:45], -v[78:79]
	v_add_f64 v[80:81], v[152:153], v[80:81]
	v_add_f64 v[82:83], v[154:155], v[82:83]
	v_add_f64 v[152:153], v[88:89], -v[72:73]
	v_add_f64 v[154:155], v[94:95], -v[74:75]
	;; [unrolled: 1-line block ×6, first 2 shown]
	v_add_f64 v[64:65], v[52:53], v[64:65]
	v_add_f64 v[66:67], v[54:55], v[66:67]
	;; [unrolled: 1-line block ×4, first 2 shown]
	v_add_f64 v[72:73], v[72:73], -v[96:97]
	v_add_f64 v[74:75], v[74:75], -v[98:99]
	v_mul_f64 v[68:69], v[68:69], s[12:13]
	v_mul_f64 v[70:71], v[70:71], s[12:13]
	;; [unrolled: 1-line block ×8, first 2 shown]
	v_add_f64 v[52:53], v[56:57], -v[52:53]
	v_add_f64 v[54:55], v[58:59], -v[54:55]
	;; [unrolled: 1-line block ×4, first 2 shown]
	v_add_f64 v[46:47], v[46:47], v[48:49]
	v_add_f64 v[44:45], v[50:51], v[44:45]
	;; [unrolled: 1-line block ×4, first 2 shown]
	v_mul_f64 v[152:153], v[152:153], s[12:13]
	v_mul_f64 v[154:155], v[154:155], s[12:13]
	;; [unrolled: 1-line block ×6, first 2 shown]
	v_add_f64 v[48:49], v[64:65], v[56:57]
	v_add_f64 v[50:51], v[66:67], v[58:59]
	;; [unrolled: 1-line block ×4, first 2 shown]
	v_mul_f64 v[96:97], v[72:73], s[0:1]
	v_mul_f64 v[98:99], v[74:75], s[0:1]
	v_fma_f64 v[56:57], v[156:157], s[0:1], v[68:69]
	v_fma_f64 v[58:59], v[158:159], s[0:1], v[70:71]
	v_fma_f64 v[64:65], v[84:85], s[14:15], -v[90:91]
	v_fma_f64 v[66:67], v[86:87], s[14:15], -v[92:93]
	v_fma_f64 v[90:91], v[76:77], s[22:23], v[160:161]
	v_fma_f64 v[92:93], v[78:79], s[22:23], v[162:163]
	v_fma_f64 v[156:157], v[164:165], s[2:3], -v[160:161]
	v_fma_f64 v[158:159], v[166:167], s[2:3], -v[162:163]
	;; [unrolled: 1-line block ×6, first 2 shown]
	v_fma_f64 v[80:81], v[80:81], s[8:9], v[36:37]
	v_fma_f64 v[82:83], v[82:83], s[8:9], v[38:39]
	;; [unrolled: 1-line block ×6, first 2 shown]
	v_fma_f64 v[160:161], v[172:173], s[2:3], -v[168:169]
	v_fma_f64 v[162:163], v[174:175], s[2:3], -v[170:171]
	;; [unrolled: 1-line block ×4, first 2 shown]
	v_fma_f64 v[60:61], v[60:61], s[8:9], v[40:41]
	v_fma_f64 v[62:63], v[62:63], s[8:9], v[42:43]
	v_fma_f64 v[152:153], v[88:89], s[18:19], -v[152:153]
	v_fma_f64 v[154:155], v[94:95], s[18:19], -v[154:155]
	;; [unrolled: 1-line block ×4, first 2 shown]
	v_fma_f64 v[90:91], v[46:47], s[24:25], v[90:91]
	v_fma_f64 v[92:93], v[44:45], s[24:25], v[92:93]
	;; [unrolled: 1-line block ×6, first 2 shown]
	v_add_f64 v[156:157], v[56:57], v[80:81]
	v_add_f64 v[158:159], v[58:59], v[82:83]
	;; [unrolled: 1-line block ×6, first 2 shown]
	v_fma_f64 v[164:165], v[48:49], s[24:25], v[84:85]
	v_fma_f64 v[166:167], v[50:51], s[24:25], v[86:87]
	;; [unrolled: 1-line block ×6, first 2 shown]
	v_add_f64 v[160:161], v[72:73], v[60:61]
	v_add_f64 v[162:163], v[74:75], v[62:63]
	;; [unrolled: 1-line block ×7, first 2 shown]
	v_add_f64 v[46:47], v[158:159], -v[90:91]
	v_add_f64 v[48:49], v[78:79], v[68:69]
	v_add_f64 v[50:51], v[70:71], -v[76:77]
	v_add_f64 v[52:53], v[56:57], -v[98:99]
	v_add_f64 v[54:55], v[96:97], v[58:59]
	v_add_f64 v[56:57], v[98:99], v[56:57]
	v_add_f64 v[58:59], v[58:59], -v[96:97]
	v_add_f64 v[60:61], v[68:69], -v[78:79]
	v_add_f64 v[62:63], v[76:77], v[70:71]
	v_add_f64 v[64:65], v[156:157], -v[92:93]
	v_add_f64 v[66:67], v[90:91], v[158:159]
	v_add_f64 v[68:69], v[166:167], v[160:161]
	v_add_f64 v[70:71], v[162:163], -v[164:165]
	v_add_f64 v[72:73], v[84:85], v[152:153]
	v_add_f64 v[74:75], v[154:155], -v[86:87]
	v_add_f64 v[76:77], v[88:89], -v[80:81]
	v_add_f64 v[78:79], v[82:83], v[94:95]
	v_add_f64 v[80:81], v[80:81], v[88:89]
	v_add_f64 v[82:83], v[94:95], -v[82:83]
	v_add_f64 v[84:85], v[152:153], -v[84:85]
	v_add_f64 v[86:87], v[86:87], v[154:155]
	v_add_f64 v[88:89], v[160:161], -v[166:167]
	v_add_f64 v[90:91], v[164:165], v[162:163]
	ds_store_b128 v222, v[36:39]
	ds_store_b128 v222, v[44:47] offset:144
	ds_store_b128 v222, v[48:51] offset:288
	;; [unrolled: 1-line block ×6, first 2 shown]
	ds_store_b128 v221, v[40:43]
	ds_store_b128 v221, v[68:71] offset:144
	ds_store_b128 v221, v[72:75] offset:288
	;; [unrolled: 1-line block ×6, first 2 shown]
	s_waitcnt lgkmcnt(0)
	s_barrier
	buffer_gl0_inv
	ds_load_b128 v[36:39], v217 offset:2016
	ds_load_b128 v[40:43], v217 offset:4032
	;; [unrolled: 1-line block ×12, first 2 shown]
	s_waitcnt lgkmcnt(11)
	v_mul_f64 v[84:85], v[102:103], v[38:39]
	v_mul_f64 v[86:87], v[102:103], v[36:37]
	s_waitcnt lgkmcnt(10)
	v_mul_f64 v[88:89], v[106:107], v[42:43]
	v_mul_f64 v[90:91], v[106:107], v[40:41]
	;; [unrolled: 3-line block ×9, first 2 shown]
	v_mul_f64 v[164:165], v[122:123], v[70:71]
	v_mul_f64 v[166:167], v[122:123], v[68:69]
	v_fma_f64 v[36:37], v[100:101], v[36:37], v[84:85]
	v_fma_f64 v[38:39], v[100:101], v[38:39], -v[86:87]
	v_fma_f64 v[40:41], v[104:105], v[40:41], v[88:89]
	v_fma_f64 v[42:43], v[104:105], v[42:43], -v[90:91]
	v_fma_f64 v[44:45], v[108:109], v[44:45], v[92:93]
	v_fma_f64 v[46:47], v[108:109], v[46:47], -v[94:95]
	v_fma_f64 v[48:49], v[112:113], v[48:49], v[96:97]
	v_fma_f64 v[50:51], v[112:113], v[50:51], -v[98:99]
	s_waitcnt lgkmcnt(1)
	v_mul_f64 v[84:85], v[118:119], v[78:79]
	v_mul_f64 v[86:87], v[118:119], v[76:77]
	s_waitcnt lgkmcnt(0)
	v_mul_f64 v[88:89], v[122:123], v[82:83]
	v_mul_f64 v[90:91], v[122:123], v[80:81]
	v_fma_f64 v[52:53], v[100:101], v[52:53], v[152:153]
	v_fma_f64 v[54:55], v[100:101], v[54:55], -v[102:103]
	v_fma_f64 v[56:57], v[104:105], v[56:57], v[154:155]
	v_fma_f64 v[58:59], v[104:105], v[58:59], -v[106:107]
	;; [unrolled: 2-line block ×6, first 2 shown]
	v_add_f64 v[92:93], v[36:37], v[44:45]
	v_add_f64 v[94:95], v[38:39], v[46:47]
	;; [unrolled: 1-line block ×4, first 2 shown]
	v_fma_f64 v[76:77], v[116:117], v[76:77], v[84:85]
	v_fma_f64 v[78:79], v[116:117], v[78:79], -v[86:87]
	v_fma_f64 v[80:81], v[120:121], v[80:81], v[88:89]
	v_fma_f64 v[82:83], v[120:121], v[82:83], -v[90:91]
	v_add_f64 v[48:49], v[40:41], -v[48:49]
	v_add_f64 v[50:51], v[42:43], -v[50:51]
	;; [unrolled: 1-line block ×4, first 2 shown]
	v_add_f64 v[84:85], v[52:53], v[60:61]
	v_add_f64 v[86:87], v[54:55], v[62:63]
	;; [unrolled: 1-line block ×4, first 2 shown]
	v_add_f64 v[56:57], v[56:57], -v[64:65]
	v_add_f64 v[58:59], v[58:59], -v[66:67]
	v_add_f64 v[100:101], v[72:73], v[68:69]
	v_add_f64 v[102:103], v[74:75], v[70:71]
	v_add_f64 v[68:69], v[68:69], -v[72:73]
	v_add_f64 v[70:71], v[70:71], -v[74:75]
	;; [unrolled: 1-line block ×4, first 2 shown]
	v_add_f64 v[36:37], v[96:97], v[92:93]
	v_add_f64 v[38:39], v[98:99], v[94:95]
	;; [unrolled: 1-line block ×4, first 2 shown]
	v_add_f64 v[64:65], v[80:81], -v[76:77]
	v_add_f64 v[66:67], v[82:83], -v[78:79]
	;; [unrolled: 1-line block ×4, first 2 shown]
	v_add_f64 v[60:61], v[88:89], v[84:85]
	v_add_f64 v[62:63], v[90:91], v[86:87]
	v_add_f64 v[72:73], v[92:93], -v[100:101]
	v_add_f64 v[74:75], v[94:95], -v[102:103]
	;; [unrolled: 1-line block ×10, first 2 shown]
	v_add_f64 v[48:49], v[68:69], v[48:49]
	v_add_f64 v[50:51], v[70:71], v[50:51]
	v_add_f64 v[68:69], v[44:45], -v[68:69]
	v_add_f64 v[70:71], v[46:47], -v[70:71]
	v_add_f64 v[100:101], v[100:101], v[36:37]
	v_add_f64 v[102:103], v[102:103], v[38:39]
	v_add_f64 v[108:109], v[84:85], -v[40:41]
	v_add_f64 v[110:111], v[86:87], -v[42:43]
	;; [unrolled: 1-line block ×6, first 2 shown]
	v_add_f64 v[56:57], v[64:65], v[56:57]
	v_add_f64 v[58:59], v[66:67], v[58:59]
	;; [unrolled: 1-line block ×4, first 2 shown]
	ds_load_b128 v[36:39], v217
	ds_load_b128 v[40:43], v217 offset:1008
	v_mul_f64 v[152:153], v[104:105], s[2:3]
	v_mul_f64 v[72:73], v[72:73], s[12:13]
	;; [unrolled: 1-line block ×8, first 2 shown]
	v_add_f64 v[64:65], v[52:53], -v[64:65]
	v_add_f64 v[66:67], v[54:55], -v[66:67]
	v_mul_f64 v[156:157], v[116:117], s[2:3]
	v_mul_f64 v[158:159], v[118:119], s[2:3]
	v_add_f64 v[84:85], v[88:89], -v[84:85]
	v_add_f64 v[86:87], v[90:91], -v[86:87]
	v_add_f64 v[44:45], v[48:49], v[44:45]
	v_add_f64 v[46:47], v[50:51], v[46:47]
	s_waitcnt lgkmcnt(0)
	s_barrier
	buffer_gl0_inv
	v_add_f64 v[36:37], v[36:37], v[100:101]
	v_add_f64 v[38:39], v[38:39], v[102:103]
	v_mul_f64 v[108:109], v[108:109], s[12:13]
	v_mul_f64 v[110:111], v[110:111], s[12:13]
	;; [unrolled: 1-line block ×6, first 2 shown]
	v_add_f64 v[48:49], v[56:57], v[52:53]
	v_add_f64 v[50:51], v[58:59], v[54:55]
	;; [unrolled: 1-line block ×4, first 2 shown]
	v_fma_f64 v[52:53], v[76:77], s[0:1], v[72:73]
	v_fma_f64 v[54:55], v[78:79], s[0:1], v[74:75]
	v_fma_f64 v[56:57], v[92:93], s[14:15], -v[96:97]
	v_fma_f64 v[58:59], v[94:95], s[14:15], -v[98:99]
	v_fma_f64 v[76:77], v[68:69], s[22:23], v[80:81]
	v_fma_f64 v[78:79], v[70:71], s[22:23], v[82:83]
	v_fma_f64 v[68:69], v[68:69], s[20:21], -v[152:153]
	v_fma_f64 v[70:71], v[70:71], s[20:21], -v[154:155]
	;; [unrolled: 1-line block ×6, first 2 shown]
	v_fma_f64 v[96:97], v[100:101], s[8:9], v[36:37]
	v_fma_f64 v[98:99], v[102:103], s[8:9], v[38:39]
	;; [unrolled: 1-line block ×6, first 2 shown]
	v_fma_f64 v[104:105], v[116:117], s[2:3], -v[112:113]
	v_fma_f64 v[106:107], v[118:119], s[2:3], -v[114:115]
	;; [unrolled: 1-line block ×4, first 2 shown]
	v_fma_f64 v[60:61], v[60:61], s[8:9], v[40:41]
	v_fma_f64 v[62:63], v[62:63], s[8:9], v[42:43]
	v_fma_f64 v[108:109], v[84:85], s[18:19], -v[108:109]
	v_fma_f64 v[110:111], v[86:87], s[18:19], -v[110:111]
	;; [unrolled: 1-line block ×4, first 2 shown]
	s_mul_i32 s1, s5, 0x62
	s_mul_hi_u32 s3, s4, 0x62
	v_fma_f64 v[76:77], v[44:45], s[24:25], v[76:77]
	v_fma_f64 v[78:79], v[46:47], s[24:25], v[78:79]
	v_fma_f64 v[68:69], v[44:45], s[24:25], v[68:69]
	v_fma_f64 v[70:71], v[46:47], s[24:25], v[70:71]
	s_mul_i32 s2, s4, 0x62
	s_add_i32 s3, s3, s1
	v_fma_f64 v[80:81], v[44:45], s[24:25], v[80:81]
	v_fma_f64 v[82:83], v[46:47], s[24:25], v[82:83]
	s_lshl_b64 s[2:3], s[2:3], 4
	v_add_f64 v[88:89], v[52:53], v[96:97]
	v_add_f64 v[90:91], v[54:55], v[98:99]
	;; [unrolled: 1-line block ×6, first 2 shown]
	v_fma_f64 v[96:97], v[48:49], s[24:25], v[100:101]
	v_fma_f64 v[98:99], v[50:51], s[24:25], v[102:103]
	;; [unrolled: 1-line block ×6, first 2 shown]
	v_add_f64 v[92:93], v[92:93], v[60:61]
	v_add_f64 v[94:95], v[94:95], v[62:63]
	;; [unrolled: 1-line block ×7, first 2 shown]
	v_add_f64 v[46:47], v[90:91], -v[76:77]
	v_add_f64 v[48:49], v[70:71], v[72:73]
	v_add_f64 v[50:51], v[74:75], -v[68:69]
	v_add_f64 v[52:53], v[56:57], -v[82:83]
	v_add_f64 v[54:55], v[80:81], v[58:59]
	v_add_f64 v[56:57], v[82:83], v[56:57]
	v_add_f64 v[58:59], v[58:59], -v[80:81]
	v_add_f64 v[60:61], v[72:73], -v[70:71]
	v_add_f64 v[62:63], v[68:69], v[74:75]
	v_add_f64 v[64:65], v[88:89], -v[78:79]
	v_add_f64 v[66:67], v[76:77], v[90:91]
	v_add_f64 v[68:69], v[98:99], v[92:93]
	v_add_f64 v[70:71], v[94:95], -v[96:97]
	v_add_f64 v[72:73], v[106:107], v[108:109]
	v_add_f64 v[74:75], v[110:111], -v[104:105]
	v_add_f64 v[76:77], v[84:85], -v[102:103]
	v_add_f64 v[78:79], v[100:101], v[86:87]
	v_add_f64 v[80:81], v[102:103], v[84:85]
	v_add_f64 v[82:83], v[86:87], -v[100:101]
	v_add_f64 v[84:85], v[108:109], -v[106:107]
	v_add_f64 v[86:87], v[104:105], v[110:111]
	v_add_f64 v[88:89], v[92:93], -v[98:99]
	v_add_f64 v[90:91], v[96:97], v[94:95]
	ds_store_b128 v217, v[36:39]
	ds_store_b128 v217, v[44:47] offset:1008
	ds_store_b128 v217, v[48:51] offset:2016
	;; [unrolled: 1-line block ×13, first 2 shown]
	s_waitcnt lgkmcnt(0)
	s_barrier
	buffer_gl0_inv
	ds_load_b128 v[36:39], v217 offset:7056
	ds_load_b128 v[40:43], v217 offset:8064
	;; [unrolled: 1-line block ×8, first 2 shown]
	s_waitcnt lgkmcnt(7)
	v_mul_f64 v[68:69], v[126:127], v[38:39]
	v_mul_f64 v[70:71], v[126:127], v[36:37]
	s_waitcnt lgkmcnt(6)
	v_mul_f64 v[72:73], v[130:131], v[42:43]
	v_mul_f64 v[74:75], v[130:131], v[40:41]
	;; [unrolled: 3-line block ×7, first 2 shown]
	v_fma_f64 v[68:69], v[124:125], v[36:37], v[68:69]
	v_fma_f64 v[70:71], v[124:125], v[38:39], -v[70:71]
	v_fma_f64 v[72:73], v[128:129], v[40:41], v[72:73]
	v_fma_f64 v[74:75], v[128:129], v[42:43], -v[74:75]
	;; [unrolled: 2-line block ×7, first 2 shown]
	ds_load_b128 v[36:39], v217
	ds_load_b128 v[40:43], v217 offset:1008
	ds_load_b128 v[44:47], v217 offset:2016
	;; [unrolled: 1-line block ×5, first 2 shown]
	s_waitcnt lgkmcnt(5)
	v_add_f64 v[60:61], v[36:37], -v[68:69]
	v_add_f64 v[62:63], v[38:39], -v[70:71]
	s_waitcnt lgkmcnt(4)
	v_add_f64 v[68:69], v[40:41], -v[72:73]
	v_add_f64 v[70:71], v[42:43], -v[74:75]
	;; [unrolled: 3-line block ×6, first 2 shown]
	v_add_f64 v[88:89], v[64:65], -v[92:93]
	v_add_f64 v[90:91], v[66:67], -v[94:95]
	v_fma_f64 v[36:37], v[36:37], 2.0, -v[60:61]
	v_fma_f64 v[38:39], v[38:39], 2.0, -v[62:63]
	;; [unrolled: 1-line block ×14, first 2 shown]
	ds_store_b128 v217, v[68:71] offset:8064
	ds_store_b128 v217, v[72:75] offset:9072
	ds_store_b128 v217, v[76:79] offset:10080
	ds_store_b128 v217, v[80:83] offset:11088
	ds_store_b128 v217, v[84:87] offset:12096
	ds_store_b128 v217, v[88:91] offset:13104
	ds_store_b128 v217, v[36:39]
	ds_store_b128 v217, v[40:43] offset:1008
	ds_store_b128 v217, v[44:47] offset:2016
	;; [unrolled: 1-line block ×7, first 2 shown]
	s_waitcnt lgkmcnt(0)
	s_barrier
	buffer_gl0_inv
	ds_load_b128 v[36:39], v217
	ds_load_b128 v[40:43], v217 offset:1568
	ds_load_b128 v[44:47], v217 offset:3136
	;; [unrolled: 1-line block ×8, first 2 shown]
	v_mad_u64_u32 v[72:73], null, s6, v216, 0
	v_mad_u64_u32 v[74:75], null, s4, v218, 0
	s_delay_alu instid0(VALU_DEP_1)
	v_mad_u64_u32 v[94:95], null, s7, v216, v[73:74]
	s_waitcnt lgkmcnt(8)
	v_mul_f64 v[76:77], v[2:3], v[38:39]
	v_mul_f64 v[2:3], v[2:3], v[36:37]
	s_waitcnt lgkmcnt(7)
	v_mul_f64 v[78:79], v[6:7], v[42:43]
	v_mul_f64 v[6:7], v[6:7], v[40:41]
	;; [unrolled: 3-line block ×9, first 2 shown]
	v_mov_b32_e32 v73, v94
	s_mov_b32 s6, 0x5bb804a5
	s_mov_b32 s7, 0x3f529372
	s_delay_alu instid0(VALU_DEP_1)
	v_lshlrev_b64 v[72:73], 4, v[72:73]
	v_fma_f64 v[36:37], v[0:1], v[36:37], v[76:77]
	v_fma_f64 v[0:1], v[0:1], v[38:39], -v[2:3]
	v_fma_f64 v[38:39], v[4:5], v[40:41], v[78:79]
	v_fma_f64 v[40:41], v[4:5], v[42:43], -v[6:7]
	;; [unrolled: 2-line block ×9, first 2 shown]
	v_mad_u64_u32 v[95:96], null, s5, v218, v[75:76]
	v_add_co_u32 v2, s0, s10, v72
	s_delay_alu instid0(VALU_DEP_1) | instskip(NEXT) | instid1(VALU_DEP_3)
	v_add_co_ci_u32_e64 v3, s0, s11, v73, s0
	v_mov_b32_e32 v75, v95
	s_delay_alu instid0(VALU_DEP_1) | instskip(NEXT) | instid1(VALU_DEP_1)
	v_lshlrev_b64 v[74:75], 4, v[74:75]
	v_add_co_u32 v62, s0, v2, v74
	s_delay_alu instid0(VALU_DEP_1) | instskip(SKIP_1) | instid1(VALU_DEP_3)
	v_add_co_ci_u32_e64 v63, s0, v3, v75, s0
	v_mul_f64 v[2:3], v[36:37], s[6:7]
	v_add_co_u32 v64, s0, v62, s2
	s_delay_alu instid0(VALU_DEP_1) | instskip(SKIP_1) | instid1(VALU_DEP_3)
	v_add_co_ci_u32_e64 v65, s0, s3, v63, s0
	v_mul_f64 v[4:5], v[0:1], s[6:7]
	v_add_co_u32 v66, s0, v64, s2
	v_mul_f64 v[6:7], v[38:39], s[6:7]
	v_mul_f64 v[8:9], v[40:41], s[6:7]
	;; [unrolled: 1-line block ×4, first 2 shown]
	v_add_co_ci_u32_e64 v67, s0, s3, v65, s0
	v_mul_f64 v[14:15], v[46:47], s[6:7]
	v_mul_f64 v[16:17], v[20:21], s[6:7]
	;; [unrolled: 1-line block ×8, first 2 shown]
	v_add_co_u32 v38, s0, v66, s2
	v_mul_f64 v[30:31], v[54:55], s[6:7]
	v_mul_f64 v[32:33], v[56:57], s[6:7]
	;; [unrolled: 1-line block ×4, first 2 shown]
	v_add_co_ci_u32_e64 v39, s0, s3, v67, s0
	v_add_co_u32 v40, s0, v38, s2
	s_delay_alu instid0(VALU_DEP_1) | instskip(NEXT) | instid1(VALU_DEP_2)
	v_add_co_ci_u32_e64 v41, s0, s3, v39, s0
	v_add_co_u32 v42, s0, v40, s2
	s_delay_alu instid0(VALU_DEP_1) | instskip(NEXT) | instid1(VALU_DEP_2)
	;; [unrolled: 3-line block ×4, first 2 shown]
	v_add_co_ci_u32_e64 v47, s0, s3, v45, s0
	v_add_co_u32 v0, s0, v46, s2
	s_delay_alu instid0(VALU_DEP_1)
	v_add_co_ci_u32_e64 v1, s0, s3, v47, s0
	s_clause 0x4
	global_store_b128 v[62:63], v[2:5], off
	global_store_b128 v[64:65], v[6:9], off
	global_store_b128 v[66:67], v[10:13], off
	global_store_b128 v[38:39], v[14:17], off
	global_store_b128 v[40:41], v[18:21], off
	global_store_b128 v[42:43], v[22:25], off
	global_store_b128 v[44:45], v[26:29], off
	global_store_b128 v[46:47], v[30:33], off
	global_store_b128 v[0:1], v[34:37], off
	s_and_b32 exec_lo, exec_lo, vcc_lo
	s_cbranch_execz .LBB0_15
; %bb.14:
	s_clause 0x2
	global_load_b128 v[2:5], v[214:215], off offset:1008
	global_load_b128 v[6:9], v[214:215], off offset:2576
	;; [unrolled: 1-line block ×3, first 2 shown]
	ds_load_b128 v[14:17], v217 offset:1008
	ds_load_b128 v[18:21], v217 offset:2576
	;; [unrolled: 1-line block ×4, first 2 shown]
	s_mul_i32 s0, s5, 0xffffd2f0
	s_delay_alu instid0(SALU_CYCLE_1)
	s_sub_i32 s0, s0, s4
	s_waitcnt vmcnt(2) lgkmcnt(3)
	v_mul_f64 v[30:31], v[16:17], v[4:5]
	v_mul_f64 v[4:5], v[14:15], v[4:5]
	s_waitcnt vmcnt(1) lgkmcnt(2)
	v_mul_f64 v[32:33], v[20:21], v[8:9]
	v_mul_f64 v[8:9], v[18:19], v[8:9]
	;; [unrolled: 3-line block ×3, first 2 shown]
	v_fma_f64 v[14:15], v[14:15], v[2:3], v[30:31]
	v_fma_f64 v[4:5], v[2:3], v[16:17], -v[4:5]
	v_fma_f64 v[16:17], v[18:19], v[6:7], v[32:33]
	v_fma_f64 v[8:9], v[6:7], v[20:21], -v[8:9]
	;; [unrolled: 2-line block ×3, first 2 shown]
	v_mul_f64 v[2:3], v[14:15], s[6:7]
	v_mul_f64 v[4:5], v[4:5], s[6:7]
	;; [unrolled: 1-line block ×6, first 2 shown]
	v_mad_u64_u32 v[14:15], null, 0xffffd2f0, s4, v[0:1]
	s_delay_alu instid0(VALU_DEP_1) | instskip(NEXT) | instid1(VALU_DEP_2)
	v_add_nc_u32_e32 v15, s0, v15
	v_add_co_u32 v0, vcc_lo, v14, s2
	s_delay_alu instid0(VALU_DEP_2) | instskip(NEXT) | instid1(VALU_DEP_2)
	v_add_co_ci_u32_e32 v1, vcc_lo, s3, v15, vcc_lo
	v_add_co_u32 v16, vcc_lo, v0, s2
	s_delay_alu instid0(VALU_DEP_2)
	v_add_co_ci_u32_e32 v17, vcc_lo, s3, v1, vcc_lo
	global_store_b128 v[14:15], v[2:5], off
	global_store_b128 v[0:1], v[6:9], off
	;; [unrolled: 1-line block ×3, first 2 shown]
	global_load_b128 v[0:3], v[210:211], off offset:1616
	v_add_co_u32 v12, vcc_lo, v16, s2
	v_add_co_ci_u32_e32 v13, vcc_lo, s3, v17, vcc_lo
	s_waitcnt vmcnt(0) lgkmcnt(0)
	v_mul_f64 v[4:5], v[28:29], v[2:3]
	v_mul_f64 v[2:3], v[26:27], v[2:3]
	s_delay_alu instid0(VALU_DEP_2) | instskip(NEXT) | instid1(VALU_DEP_2)
	v_fma_f64 v[4:5], v[26:27], v[0:1], v[4:5]
	v_fma_f64 v[2:3], v[0:1], v[28:29], -v[2:3]
	s_delay_alu instid0(VALU_DEP_2) | instskip(NEXT) | instid1(VALU_DEP_2)
	v_mul_f64 v[0:1], v[4:5], s[6:7]
	v_mul_f64 v[2:3], v[2:3], s[6:7]
	global_store_b128 v[12:13], v[0:3], off
	global_load_b128 v[0:3], v[210:211], off offset:3184
	ds_load_b128 v[4:7], v217 offset:7280
	ds_load_b128 v[8:11], v217 offset:8848
	s_waitcnt vmcnt(0) lgkmcnt(1)
	v_mul_f64 v[14:15], v[6:7], v[2:3]
	v_mul_f64 v[2:3], v[4:5], v[2:3]
	s_delay_alu instid0(VALU_DEP_2) | instskip(NEXT) | instid1(VALU_DEP_2)
	v_fma_f64 v[4:5], v[4:5], v[0:1], v[14:15]
	v_fma_f64 v[2:3], v[0:1], v[6:7], -v[2:3]
	s_delay_alu instid0(VALU_DEP_2) | instskip(NEXT) | instid1(VALU_DEP_2)
	v_mul_f64 v[0:1], v[4:5], s[6:7]
	v_mul_f64 v[2:3], v[2:3], s[6:7]
	v_add_co_u32 v4, vcc_lo, v12, s2
	v_add_co_ci_u32_e32 v5, vcc_lo, s3, v13, vcc_lo
	s_delay_alu instid0(VALU_DEP_2) | instskip(NEXT) | instid1(VALU_DEP_2)
	v_add_co_u32 v12, vcc_lo, v4, s2
	v_add_co_ci_u32_e32 v13, vcc_lo, s3, v5, vcc_lo
	global_store_b128 v[4:5], v[0:3], off
	global_load_b128 v[0:3], v[208:209], off offset:656
	s_waitcnt vmcnt(0) lgkmcnt(0)
	v_mul_f64 v[6:7], v[10:11], v[2:3]
	v_mul_f64 v[2:3], v[8:9], v[2:3]
	s_delay_alu instid0(VALU_DEP_2) | instskip(NEXT) | instid1(VALU_DEP_2)
	v_fma_f64 v[6:7], v[8:9], v[0:1], v[6:7]
	v_fma_f64 v[2:3], v[0:1], v[10:11], -v[2:3]
	s_delay_alu instid0(VALU_DEP_2) | instskip(NEXT) | instid1(VALU_DEP_2)
	v_mul_f64 v[0:1], v[6:7], s[6:7]
	v_mul_f64 v[2:3], v[2:3], s[6:7]
	global_store_b128 v[12:13], v[0:3], off
	global_load_b128 v[0:3], v[208:209], off offset:2224
	ds_load_b128 v[4:7], v217 offset:10416
	ds_load_b128 v[8:11], v217 offset:11984
	s_waitcnt vmcnt(0) lgkmcnt(1)
	v_mul_f64 v[14:15], v[6:7], v[2:3]
	v_mul_f64 v[2:3], v[4:5], v[2:3]
	s_delay_alu instid0(VALU_DEP_2) | instskip(NEXT) | instid1(VALU_DEP_2)
	v_fma_f64 v[4:5], v[4:5], v[0:1], v[14:15]
	v_fma_f64 v[2:3], v[0:1], v[6:7], -v[2:3]
	s_delay_alu instid0(VALU_DEP_2) | instskip(NEXT) | instid1(VALU_DEP_2)
	v_mul_f64 v[0:1], v[4:5], s[6:7]
	v_mul_f64 v[2:3], v[2:3], s[6:7]
	v_add_co_u32 v4, vcc_lo, v12, s2
	v_add_co_ci_u32_e32 v5, vcc_lo, s3, v13, vcc_lo
	global_store_b128 v[4:5], v[0:3], off
	global_load_b128 v[0:3], v[208:209], off offset:3792
	s_waitcnt vmcnt(0) lgkmcnt(0)
	v_mul_f64 v[6:7], v[10:11], v[2:3]
	v_mul_f64 v[2:3], v[8:9], v[2:3]
	s_delay_alu instid0(VALU_DEP_2) | instskip(NEXT) | instid1(VALU_DEP_2)
	v_fma_f64 v[6:7], v[8:9], v[0:1], v[6:7]
	v_fma_f64 v[2:3], v[0:1], v[10:11], -v[2:3]
	v_add_co_u32 v8, vcc_lo, v4, s2
	v_add_co_ci_u32_e32 v9, vcc_lo, s3, v5, vcc_lo
	s_delay_alu instid0(VALU_DEP_4) | instskip(NEXT) | instid1(VALU_DEP_4)
	v_mul_f64 v[0:1], v[6:7], s[6:7]
	v_mul_f64 v[2:3], v[2:3], s[6:7]
	ds_load_b128 v[4:7], v217 offset:13552
	global_store_b128 v[8:9], v[0:3], off
	global_load_b128 v[0:3], v[212:213], off offset:1264
	s_waitcnt vmcnt(0) lgkmcnt(0)
	v_mul_f64 v[10:11], v[6:7], v[2:3]
	v_mul_f64 v[2:3], v[4:5], v[2:3]
	s_delay_alu instid0(VALU_DEP_2) | instskip(NEXT) | instid1(VALU_DEP_2)
	v_fma_f64 v[4:5], v[4:5], v[0:1], v[10:11]
	v_fma_f64 v[2:3], v[0:1], v[6:7], -v[2:3]
	s_delay_alu instid0(VALU_DEP_2) | instskip(NEXT) | instid1(VALU_DEP_2)
	v_mul_f64 v[0:1], v[4:5], s[6:7]
	v_mul_f64 v[2:3], v[2:3], s[6:7]
	v_add_co_u32 v4, vcc_lo, v8, s2
	v_add_co_ci_u32_e32 v5, vcc_lo, s3, v9, vcc_lo
	global_store_b128 v[4:5], v[0:3], off
.LBB0_15:
	s_nop 0
	s_sendmsg sendmsg(MSG_DEALLOC_VGPRS)
	s_endpgm
	.section	.rodata,"a",@progbits
	.p2align	6, 0x0
	.amdhsa_kernel bluestein_single_back_len882_dim1_dp_op_CI_CI
		.amdhsa_group_segment_fixed_size 14112
		.amdhsa_private_segment_fixed_size 0
		.amdhsa_kernarg_size 104
		.amdhsa_user_sgpr_count 15
		.amdhsa_user_sgpr_dispatch_ptr 0
		.amdhsa_user_sgpr_queue_ptr 0
		.amdhsa_user_sgpr_kernarg_segment_ptr 1
		.amdhsa_user_sgpr_dispatch_id 0
		.amdhsa_user_sgpr_private_segment_size 0
		.amdhsa_wavefront_size32 1
		.amdhsa_uses_dynamic_stack 0
		.amdhsa_enable_private_segment 0
		.amdhsa_system_sgpr_workgroup_id_x 1
		.amdhsa_system_sgpr_workgroup_id_y 0
		.amdhsa_system_sgpr_workgroup_id_z 0
		.amdhsa_system_sgpr_workgroup_info 0
		.amdhsa_system_vgpr_workitem_id 0
		.amdhsa_next_free_vgpr 253
		.amdhsa_next_free_sgpr 28
		.amdhsa_reserve_vcc 1
		.amdhsa_float_round_mode_32 0
		.amdhsa_float_round_mode_16_64 0
		.amdhsa_float_denorm_mode_32 3
		.amdhsa_float_denorm_mode_16_64 3
		.amdhsa_dx10_clamp 1
		.amdhsa_ieee_mode 1
		.amdhsa_fp16_overflow 0
		.amdhsa_workgroup_processor_mode 1
		.amdhsa_memory_ordered 1
		.amdhsa_forward_progress 0
		.amdhsa_shared_vgpr_count 0
		.amdhsa_exception_fp_ieee_invalid_op 0
		.amdhsa_exception_fp_denorm_src 0
		.amdhsa_exception_fp_ieee_div_zero 0
		.amdhsa_exception_fp_ieee_overflow 0
		.amdhsa_exception_fp_ieee_underflow 0
		.amdhsa_exception_fp_ieee_inexact 0
		.amdhsa_exception_int_div_zero 0
	.end_amdhsa_kernel
	.text
.Lfunc_end0:
	.size	bluestein_single_back_len882_dim1_dp_op_CI_CI, .Lfunc_end0-bluestein_single_back_len882_dim1_dp_op_CI_CI
                                        ; -- End function
	.section	.AMDGPU.csdata,"",@progbits
; Kernel info:
; codeLenInByte = 19604
; NumSgprs: 30
; NumVgprs: 253
; ScratchSize: 0
; MemoryBound: 0
; FloatMode: 240
; IeeeMode: 1
; LDSByteSize: 14112 bytes/workgroup (compile time only)
; SGPRBlocks: 3
; VGPRBlocks: 31
; NumSGPRsForWavesPerEU: 30
; NumVGPRsForWavesPerEU: 253
; Occupancy: 5
; WaveLimiterHint : 1
; COMPUTE_PGM_RSRC2:SCRATCH_EN: 0
; COMPUTE_PGM_RSRC2:USER_SGPR: 15
; COMPUTE_PGM_RSRC2:TRAP_HANDLER: 0
; COMPUTE_PGM_RSRC2:TGID_X_EN: 1
; COMPUTE_PGM_RSRC2:TGID_Y_EN: 0
; COMPUTE_PGM_RSRC2:TGID_Z_EN: 0
; COMPUTE_PGM_RSRC2:TIDIG_COMP_CNT: 0
	.text
	.p2alignl 7, 3214868480
	.fill 96, 4, 3214868480
	.type	__hip_cuid_e33a2026148a2791,@object ; @__hip_cuid_e33a2026148a2791
	.section	.bss,"aw",@nobits
	.globl	__hip_cuid_e33a2026148a2791
__hip_cuid_e33a2026148a2791:
	.byte	0                               ; 0x0
	.size	__hip_cuid_e33a2026148a2791, 1

	.ident	"AMD clang version 19.0.0git (https://github.com/RadeonOpenCompute/llvm-project roc-6.4.0 25133 c7fe45cf4b819c5991fe208aaa96edf142730f1d)"
	.section	".note.GNU-stack","",@progbits
	.addrsig
	.addrsig_sym __hip_cuid_e33a2026148a2791
	.amdgpu_metadata
---
amdhsa.kernels:
  - .args:
      - .actual_access:  read_only
        .address_space:  global
        .offset:         0
        .size:           8
        .value_kind:     global_buffer
      - .actual_access:  read_only
        .address_space:  global
        .offset:         8
        .size:           8
        .value_kind:     global_buffer
      - .actual_access:  read_only
        .address_space:  global
        .offset:         16
        .size:           8
        .value_kind:     global_buffer
      - .actual_access:  read_only
        .address_space:  global
        .offset:         24
        .size:           8
        .value_kind:     global_buffer
      - .actual_access:  read_only
        .address_space:  global
        .offset:         32
        .size:           8
        .value_kind:     global_buffer
      - .offset:         40
        .size:           8
        .value_kind:     by_value
      - .address_space:  global
        .offset:         48
        .size:           8
        .value_kind:     global_buffer
      - .address_space:  global
        .offset:         56
        .size:           8
        .value_kind:     global_buffer
      - .address_space:  global
        .offset:         64
        .size:           8
        .value_kind:     global_buffer
      - .address_space:  global
        .offset:         72
        .size:           8
        .value_kind:     global_buffer
      - .offset:         80
        .size:           4
        .value_kind:     by_value
      - .address_space:  global
        .offset:         88
        .size:           8
        .value_kind:     global_buffer
      - .address_space:  global
        .offset:         96
        .size:           8
        .value_kind:     global_buffer
    .group_segment_fixed_size: 14112
    .kernarg_segment_align: 8
    .kernarg_segment_size: 104
    .language:       OpenCL C
    .language_version:
      - 2
      - 0
    .max_flat_workgroup_size: 63
    .name:           bluestein_single_back_len882_dim1_dp_op_CI_CI
    .private_segment_fixed_size: 0
    .sgpr_count:     30
    .sgpr_spill_count: 0
    .symbol:         bluestein_single_back_len882_dim1_dp_op_CI_CI.kd
    .uniform_work_group_size: 1
    .uses_dynamic_stack: false
    .vgpr_count:     253
    .vgpr_spill_count: 0
    .wavefront_size: 32
    .workgroup_processor_mode: 1
amdhsa.target:   amdgcn-amd-amdhsa--gfx1100
amdhsa.version:
  - 1
  - 2
...

	.end_amdgpu_metadata
